;; amdgpu-corpus repo=ROCm/rocFFT kind=compiled arch=gfx1201 opt=O3
	.text
	.amdgcn_target "amdgcn-amd-amdhsa--gfx1201"
	.amdhsa_code_object_version 6
	.protected	bluestein_single_back_len1170_dim1_half_op_CI_CI ; -- Begin function bluestein_single_back_len1170_dim1_half_op_CI_CI
	.globl	bluestein_single_back_len1170_dim1_half_op_CI_CI
	.p2align	8
	.type	bluestein_single_back_len1170_dim1_half_op_CI_CI,@function
bluestein_single_back_len1170_dim1_half_op_CI_CI: ; @bluestein_single_back_len1170_dim1_half_op_CI_CI
; %bb.0:
	s_load_b128 s[16:19], s[0:1], 0x28
	v_mul_u32_u24_e32 v1, 0x231, v0
	s_mov_b32 s2, exec_lo
	v_mov_b32_e32 v21, 0
	s_delay_alu instid0(VALU_DEP_2) | instskip(NEXT) | instid1(VALU_DEP_1)
	v_lshrrev_b32_e32 v1, 16, v1
	v_add_nc_u32_e32 v20, ttmp9, v1
	s_wait_kmcnt 0x0
	s_delay_alu instid0(VALU_DEP_1)
	v_cmpx_gt_u64_e64 s[16:17], v[20:21]
	s_cbranch_execz .LBB0_26
; %bb.1:
	s_clause 0x1
	s_load_b128 s[4:7], s[0:1], 0x18
	s_load_b128 s[8:11], s[0:1], 0x0
	v_mul_lo_u16 v1, 0x75, v1
	s_movk_i32 s2, 0xf8b0
	s_mov_b32 s3, -1
                                        ; implicit-def: $vgpr33
                                        ; implicit-def: $vgpr46
                                        ; implicit-def: $vgpr44
                                        ; implicit-def: $vgpr72
	s_delay_alu instid0(VALU_DEP_1) | instskip(NEXT) | instid1(VALU_DEP_1)
	v_sub_nc_u16 v7, v0, v1
	v_and_b32_e32 v63, 0xffff, v7
	s_delay_alu instid0(VALU_DEP_1)
	v_lshlrev_b32_e32 v76, 3, v63
	v_lshlrev_b32_e32 v52, 2, v63
	s_wait_kmcnt 0x0
	s_load_b128 s[12:15], s[4:5], 0x0
	s_clause 0x9
	global_load_b32 v61, v52, s[8:9] offset:2808
	global_load_b32 v57, v52, s[8:9] offset:3276
	global_load_b32 v66, v52, s[8:9]
	global_load_b32 v65, v52, s[8:9] offset:468
	global_load_b32 v59, v52, s[8:9] offset:936
	global_load_b32 v55, v52, s[8:9] offset:1404
	global_load_b32 v67, v52, s[8:9] offset:2340
	global_load_b32 v50, v52, s[8:9] offset:1872
	global_load_b32 v54, v52, s[8:9] offset:3744
	global_load_b32 v49, v52, s[8:9] offset:4212
	v_add_nc_u32_e32 v14, 0xe00, v52
	s_wait_kmcnt 0x0
	v_mad_co_u64_u32 v[0:1], null, s14, v20, 0
	v_mad_co_u64_u32 v[2:3], null, s12, v63, 0
	s_mul_u64 s[4:5], s[12:13], 0x924
	s_mul_u64 s[2:3], s[12:13], s[2:3]
	s_delay_alu instid0(VALU_DEP_1) | instskip(NEXT) | instid1(VALU_DEP_1)
	v_mad_co_u64_u32 v[4:5], null, s15, v20, v[1:2]
	v_mad_co_u64_u32 v[5:6], null, s13, v63, v[3:4]
	v_mov_b32_e32 v1, v4
	s_load_b64 s[12:13], s[0:1], 0x38
	v_add_co_u32 v31, s1, 0x75, v63
	v_cmp_gt_u16_e64 s0, 0x5a, v7
	s_delay_alu instid0(VALU_DEP_3) | instskip(SKIP_3) | instid1(VALU_DEP_3)
	v_lshlrev_b64_e32 v[0:1], 2, v[0:1]
	v_mov_b32_e32 v3, v5
	v_add_nc_u32_e32 v7, 0x600, v52
	v_lshlrev_b32_e32 v75, 3, v31
	v_lshlrev_b64_e32 v[2:3], 2, v[2:3]
	v_add_co_u32 v0, vcc_lo, s18, v0
	v_add_co_ci_u32_e32 v1, vcc_lo, s19, v1, vcc_lo
	s_delay_alu instid0(VALU_DEP_2) | instskip(SKIP_1) | instid1(VALU_DEP_2)
	v_add_co_u32 v0, vcc_lo, v0, v2
	s_wait_alu 0xfffd
	v_add_co_ci_u32_e32 v1, vcc_lo, v1, v3, vcc_lo
	global_load_b32 v4, v[0:1], off
	v_add_co_u32 v0, vcc_lo, v0, s4
	s_wait_alu 0xfffd
	v_add_co_ci_u32_e32 v1, vcc_lo, s5, v1, vcc_lo
	s_delay_alu instid0(VALU_DEP_2) | instskip(SKIP_1) | instid1(VALU_DEP_2)
	v_add_co_u32 v2, vcc_lo, v0, s2
	s_wait_alu 0xfffd
	v_add_co_ci_u32_e32 v3, vcc_lo, s3, v1, vcc_lo
	global_load_b32 v5, v[0:1], off
	v_add_co_u32 v0, vcc_lo, v2, s4
	s_wait_alu 0xfffd
	v_add_co_ci_u32_e32 v1, vcc_lo, s5, v3, vcc_lo
	s_clause 0x1
	global_load_b32 v6, v[2:3], off
	global_load_b32 v8, v[0:1], off
	v_add_co_u32 v0, vcc_lo, v0, s2
	s_wait_alu 0xfffd
	v_add_co_ci_u32_e32 v1, vcc_lo, s3, v1, vcc_lo
	s_delay_alu instid0(VALU_DEP_2) | instskip(SKIP_1) | instid1(VALU_DEP_2)
	v_add_co_u32 v2, vcc_lo, v0, s4
	s_wait_alu 0xfffd
	v_add_co_ci_u32_e32 v3, vcc_lo, s5, v1, vcc_lo
	global_load_b32 v9, v[0:1], off
	v_add_co_u32 v0, vcc_lo, v2, s2
	s_wait_alu 0xfffd
	v_add_co_ci_u32_e32 v1, vcc_lo, s3, v3, vcc_lo
	global_load_b32 v10, v[2:3], off
	;; [unrolled: 4-line block ×5, first 2 shown]
	global_load_b32 v2, v[2:3], off
	s_wait_alu 0xf1ff
	v_add_co_ci_u32_e64 v0, null, 0, 0, s1
	v_add_nc_u32_e32 v0, 0xa00, v52
	v_add_nc_u32_e32 v1, 0x200, v52
	s_load_b128 s[4:7], s[6:7], 0x0
	v_add_co_u32 v25, s1, 0xea, v63
	s_delay_alu instid0(VALU_DEP_1)
	v_lshlrev_b32_e32 v74, 3, v25
	s_wait_loadcnt 0x11
	v_lshrrev_b32_e32 v70, 16, v66
	s_wait_loadcnt 0xd
	v_lshrrev_b32_e32 v69, 16, v67
	v_lshrrev_b32_e32 v68, 16, v65
	s_wait_loadcnt 0xc
	v_lshrrev_b32_e32 v53, 16, v50
	v_lshrrev_b32_e32 v64, 16, v61
	v_lshrrev_b32_e32 v62, 16, v59
	s_wait_loadcnt 0xb
	v_lshrrev_b32_e32 v56, 16, v54
	;; [unrolled: 4-line block ×3, first 2 shown]
	s_wait_loadcnt 0x9
	v_lshrrev_b32_e32 v3, 16, v4
	v_mul_f16_e32 v15, v70, v4
	s_delay_alu instid0(VALU_DEP_2) | instskip(NEXT) | instid1(VALU_DEP_2)
	v_mul_f16_e32 v16, v70, v3
	v_fma_f16 v3, v66, v3, -v15
	s_wait_loadcnt 0x8
	v_lshrrev_b32_e32 v17, 16, v5
	v_mul_f16_e32 v18, v69, v5
	v_fmac_f16_e32 v16, v66, v4
	s_delay_alu instid0(VALU_DEP_3)
	v_mul_f16_e32 v4, v69, v17
	s_wait_loadcnt 0x7
	v_lshrrev_b32_e32 v15, 16, v6
	v_fma_f16 v17, v67, v17, -v18
	v_mul_f16_e32 v18, v68, v6
	v_pack_b32_f16 v3, v16, v3
	v_fmac_f16_e32 v4, v67, v5
	v_mul_f16_e32 v5, v68, v15
	s_wait_loadcnt 0x6
	v_lshrrev_b32_e32 v16, 16, v8
	v_fma_f16 v15, v65, v15, -v18
	v_mul_f16_e32 v19, v64, v8
	v_pack_b32_f16 v4, v4, v17
	v_fmac_f16_e32 v5, v65, v6
	s_wait_loadcnt 0x5
	v_lshrrev_b32_e32 v17, 16, v9
	v_mul_f16_e32 v6, v64, v16
	v_mul_f16_e32 v18, v62, v9
	ds_store_b32 v52, v4 offset:2340
	v_pack_b32_f16 v4, v5, v15
	v_mul_f16_e32 v5, v62, v17
	v_fma_f16 v16, v61, v16, -v19
	v_fmac_f16_e32 v6, v61, v8
	v_fma_f16 v8, v59, v17, -v18
	s_wait_loadcnt 0x4
	v_lshrrev_b32_e32 v15, 16, v10
	v_mul_f16_e32 v17, v60, v10
	v_fmac_f16_e32 v5, v59, v9
	s_wait_loadcnt 0x3
	v_lshrrev_b32_e32 v9, 16, v11
	v_pack_b32_f16 v6, v6, v16
	v_mul_f16_e32 v16, v60, v15
	v_fma_f16 v15, v57, v15, -v17
	v_mul_f16_e32 v17, v58, v11
	v_pack_b32_f16 v5, v5, v8
	v_mul_f16_e32 v8, v58, v9
	v_fmac_f16_e32 v16, v57, v10
	s_wait_loadcnt 0x2
	v_lshrrev_b32_e32 v10, 16, v12
	v_fma_f16 v9, v55, v9, -v17
	v_mul_f16_e32 v17, v56, v12
	v_fmac_f16_e32 v8, v55, v11
	s_wait_loadcnt 0x1
	v_lshrrev_b32_e32 v11, 16, v13
	s_wait_loadcnt 0x0
	v_lshrrev_b32_e32 v19, 16, v2
	v_mul_f16_e32 v18, v56, v10
	v_fma_f16 v10, v54, v10, -v17
	v_mul_f16_e32 v17, v53, v13
	v_mul_f16_e32 v21, v53, v11
	;; [unrolled: 1-line block ×4, first 2 shown]
	v_fmac_f16_e32 v18, v54, v12
	v_fma_f16 v11, v50, v11, -v17
	v_fmac_f16_e32 v21, v50, v13
	v_fma_f16 v12, v49, v19, -v22
	v_fmac_f16_e32 v23, v49, v2
	v_pack_b32_f16 v2, v16, v15
	v_pack_b32_f16 v8, v8, v9
	;; [unrolled: 1-line block ×5, first 2 shown]
	ds_store_2addr_b32 v52, v3, v4 offset1:117
	ds_store_2addr_b32 v0, v6, v2 offset0:62 offset1:179
	ds_store_2addr_b32 v1, v5, v8 offset0:106 offset1:223
	ds_store_b32 v52, v10 offset:1872
	ds_store_2addr_b32 v14, v9, v11 offset0:40 offset1:157
	global_wb scope:SCOPE_SE
	s_wait_dscnt 0x0
	s_wait_kmcnt 0x0
	s_barrier_signal -1
	s_barrier_wait -1
	global_inv scope:SCOPE_SE
	ds_load_2addr_b32 v[2:3], v52 offset1:117
	ds_load_2addr_b32 v[4:5], v7 offset0:84 offset1:201
	ds_load_2addr_b32 v[6:7], v0 offset0:62 offset1:179
	;; [unrolled: 1-line block ×4, first 2 shown]
	s_wait_alu 0xf1ff
	v_add_co_ci_u32_e64 v12, null, 0, 0, s1
	v_add_co_u32 v29, s1, 0x15f, v63
	s_wait_alu 0xf1ff
	v_add_co_ci_u32_e64 v30, null, 0, 0, s1
	global_wb scope:SCOPE_SE
	s_wait_dscnt 0x0
	v_lshlrev_b32_e32 v73, 3, v29
	s_barrier_signal -1
	s_barrier_wait -1
	global_inv scope:SCOPE_SE
                                        ; implicit-def: $vgpr23
	v_pk_add_f16 v13, v2, v5 neg_lo:[0,1] neg_hi:[0,1]
	v_pk_add_f16 v22, v3, v6 neg_lo:[0,1] neg_hi:[0,1]
	;; [unrolled: 1-line block ×5, first 2 shown]
	v_pk_fma_f16 v12, v2, 2.0, v13 op_sel_hi:[1,0,1] neg_lo:[0,0,1] neg_hi:[0,0,1]
	v_pk_fma_f16 v21, v3, 2.0, v22 op_sel_hi:[1,0,1] neg_lo:[0,0,1] neg_hi:[0,0,1]
	;; [unrolled: 1-line block ×5, first 2 shown]
	v_lshrrev_b32_e32 v26, 16, v12
	v_lshrrev_b32_e32 v48, 16, v21
	;; [unrolled: 1-line block ×5, first 2 shown]
	ds_store_b64 v76, v[12:13]
	ds_store_b64 v75, v[21:22]
	;; [unrolled: 1-line block ×4, first 2 shown]
	ds_store_b64 v76, v[14:15] offset:3744
	global_wb scope:SCOPE_SE
	s_wait_dscnt 0x0
	s_barrier_signal -1
	s_barrier_wait -1
	global_inv scope:SCOPE_SE
	s_and_saveexec_b32 s1, s0
	s_cbranch_execz .LBB0_3
; %bb.2:
	v_add_nc_u32_e32 v2, 0x400, v52
	v_add_nc_u32_e32 v3, 0x800, v52
	;; [unrolled: 1-line block ×3, first 2 shown]
	ds_load_2addr_b32 v[12:13], v52 offset1:90
	ds_load_2addr_b32 v[21:22], v1 offset0:52 offset1:142
	ds_load_2addr_b32 v[14:15], v0 offset0:80 offset1:170
	;; [unrolled: 1-line block ×5, first 2 shown]
	ds_load_b32 v44, v52 offset:4320
	s_wait_dscnt 0x5
	v_lshrrev_b32_e32 v48, 16, v21
	s_wait_dscnt 0x4
	v_lshrrev_b32_e32 v32, 16, v14
	;; [unrolled: 2-line block ×4, first 2 shown]
	v_lshrrev_b32_e32 v26, 16, v12
	s_wait_dscnt 0x1
	v_lshrrev_b32_e32 v33, 16, v23
	v_lshrrev_b32_e32 v46, 16, v24
	s_wait_dscnt 0x0
	v_lshrrev_b32_e32 v72, 16, v44
.LBB0_3:
	s_wait_alu 0xfffe
	s_or_b32 exec_lo, exec_lo, s1
	v_and_b32_e32 v71, 1, v63
	v_lshrrev_b32_e32 v89, 16, v13
	v_lshrrev_b32_e32 v92, 16, v19
	v_lshrrev_b32_e32 v94, 16, v15
	v_lshrrev_b32_e32 v91, 16, v22
	v_mul_u32_u24_e32 v0, 12, v71
	v_lshrrev_b32_e32 v93, 16, v17
	s_delay_alu instid0(VALU_DEP_2)
	v_lshlrev_b32_e32 v0, 2, v0
	s_clause 0x2
	global_load_b128 v[8:11], v0, s[10:11]
	global_load_b128 v[4:7], v0, s[10:11] offset:16
	global_load_b128 v[0:3], v0, s[10:11] offset:32
	global_wb scope:SCOPE_SE
	s_wait_loadcnt 0x0
	s_barrier_signal -1
	s_barrier_wait -1
	global_inv scope:SCOPE_SE
	v_lshrrev_b32_e32 v87, 16, v8
	v_lshrrev_b32_e32 v88, 16, v9
	;; [unrolled: 1-line block ×7, first 2 shown]
	v_mul_f16_e32 v90, v89, v87
	v_mul_f16_e32 v43, v13, v87
	v_mul_f16_e32 v105, v72, v80
	v_mul_f16_e32 v28, v44, v80
	v_lshrrev_b32_e32 v86, 16, v10
	v_lshrrev_b32_e32 v85, 16, v11
	;; [unrolled: 1-line block ×5, first 2 shown]
	v_mul_f16_e32 v95, v48, v88
	v_mul_f16_e32 v42, v21, v88
	;; [unrolled: 1-line block ×8, first 2 shown]
	v_fma_f16 v90, v13, v8, -v90
	v_fmac_f16_e32 v43, v89, v8
	v_fma_f16 v13, v44, v3, -v105
	v_fmac_f16_e32 v28, v72, v3
	v_mul_f16_e32 v96, v91, v86
	v_mul_f16_e32 v41, v22, v86
	;; [unrolled: 1-line block ×9, first 2 shown]
	v_fma_f16 v89, v21, v9, -v95
	v_fmac_f16_e32 v42, v48, v9
	v_fma_f16 v21, v19, v4, -v98
	v_fmac_f16_e32 v39, v92, v4
	v_fma_f16 v19, v16, v5, -v99
	v_fma_f16 v16, v15, v0, -v102
	;; [unrolled: 1-line block ×3, first 2 shown]
	v_fmac_f16_e32 v27, v46, v2
	v_sub_f16_e32 v92, v90, v13
	v_sub_f16_e32 v116, v43, v28
	v_mul_f16_e32 v40, v18, v85
	v_mul_f16_e32 v37, v17, v82
	;; [unrolled: 1-line block ×3, first 2 shown]
	v_fma_f16 v48, v22, v10, -v96
	v_fmac_f16_e32 v41, v91, v10
	v_fma_f16 v22, v18, v11, -v97
	v_fma_f16 v18, v17, v6, -v100
	;; [unrolled: 1-line block ×4, first 2 shown]
	v_fmac_f16_e32 v35, v33, v1
	v_add_f16_e32 v23, v90, v13
	v_add_f16_e64 v132, v43, v28
	v_sub_f16_e32 v107, v89, v15
	v_sub_f16_e32 v125, v42, v27
	v_mul_f16_e32 v91, 0xb770, v116
	v_mul_f16_e32 v97, 0xb770, v92
	;; [unrolled: 1-line block ×4, first 2 shown]
	v_mul_f16_e64 v130, 0xbbf1, v116
	v_mul_f16_e64 v135, 0xbbf1, v92
	;; [unrolled: 1-line block ×4, first 2 shown]
	v_fmac_f16_e32 v40, v47, v11
	v_fmac_f16_e32 v38, v45, v5
	;; [unrolled: 1-line block ×5, first 2 shown]
	v_add_f16_e32 v24, v89, v15
	v_add_f16_e64 v134, v42, v27
	v_sub_f16_e32 v108, v48, v14
	v_sub_f16_e64 v128, v41, v35
	v_mul_f16_e32 v93, 0xba95, v125
	v_mul_f16_e32 v98, 0xba95, v107
	;; [unrolled: 1-line block ×4, first 2 shown]
	v_mul_f16_e64 v131, 0xb3a8, v125
	v_mul_f16_e64 v139, 0xb3a8, v107
	v_mul_f16_e64 v142, 0x394e, v125
	v_mul_f16_e64 v153, 0x394e, v107
	v_fmamk_f16 v32, v23, 0x3b15, v91
	v_fma_f16 v33, v132, 0x3b15, -v97
	v_fmamk_f16 v44, v23, 0x388b, v114
	v_fma_f16 v45, v132, 0x388b, -v122
	v_fma_f16 v46, 0x2fb7, v23, v130
	v_fma_f16 v47, v132, 0x2fb7, -v135
	v_fma_f16 v72, 0xb5ac, v23, v148
	v_fma_f16 v105, v132, 0xb5ac, -v152
	v_add_f16_e32 v104, v48, v14
	v_add_f16_e64 v159, v41, v35
	v_sub_f16_e64 v156, v40, v34
	v_sub_f16_e64 v129, v22, v16
	v_mul_f16_e64 v94, 0xbbf1, v128
	v_mul_f16_e32 v100, 0xbbf1, v108
	v_mul_f16_e64 v117, 0xb3a8, v128
	v_mul_f16_e32 v119, 0xb3a8, v108
	v_mul_f16_e64 v127, 0x3b7b, v128
	v_mul_f16_e64 v141, 0x3b7b, v108
	;; [unrolled: 1-line block ×4, first 2 shown]
	v_fmamk_f16 v106, v24, 0x388b, v93
	v_fma_f16 v163, v134, 0x388b, -v98
	v_fma_f16 v164, 0xb5ac, v24, v115
	v_fma_f16 v165, v134, 0xb5ac, -v123
	v_fma_f16 v166, 0xbbc4, v24, v131
	;; [unrolled: 2-line block ×3, first 2 shown]
	v_fma_f16 v169, v134, 0xb9fd, -v153
	v_add_f16_e32 v32, v12, v32
	v_add_f16_e32 v33, v26, v33
	;; [unrolled: 1-line block ×9, first 2 shown]
	v_add_f16_e64 v162, v40, v34
	v_sub_f16_e64 v160, v39, v36
	v_sub_f16_e64 v137, v21, v17
	v_mul_f16_e64 v96, 0xbb7b, v156
	v_mul_f16_e64 v101, 0xbb7b, v129
	;; [unrolled: 1-line block ×8, first 2 shown]
	v_fma_f16 v170, 0x2fb7, v104, v94
	v_fma_f16 v171, v159, 0x2fb7, -v100
	v_fma_f16 v172, 0xbbc4, v104, v117
	v_fma_f16 v173, v159, 0xbbc4, -v119
	;; [unrolled: 2-line block ×4, first 2 shown]
	v_add_f16_e32 v32, v106, v32
	v_add_f16_e64 v33, v163, v33
	v_add_f16_e64 v44, v164, v44
	;; [unrolled: 1-line block ×9, first 2 shown]
	v_sub_f16_e64 v161, v38, v37
	v_sub_f16_e64 v149, v19, v18
	v_mul_f16_e64 v99, 0xb94e, v160
	v_mul_f16_e64 v102, 0xb94e, v137
	;; [unrolled: 1-line block ×8, first 2 shown]
	v_fma_f16 v178, 0xb5ac, v118, v96
	v_fma_f16 v179, v162, 0xb5ac, -v101
	v_fma_f16 v180, 0xb9fd, v118, v111
	v_fma_f16 v181, v162, 0xb9fd, -v120
	;; [unrolled: 2-line block ×4, first 2 shown]
	v_add_f16_e64 v32, v170, v32
	v_add_f16_e64 v33, v171, v33
	;; [unrolled: 1-line block ×10, first 2 shown]
	v_mul_f16_e64 v95, 0xb3a8, v161
	v_mul_f16_e64 v103, 0xb3a8, v149
	;; [unrolled: 1-line block ×8, first 2 shown]
	v_fma_f16 v186, 0xb9fd, v133, v99
	v_fma_f16 v187, v158, 0xb9fd, -v102
	v_fma_f16 v188, 0x2fb7, v133, v109
	v_fma_f16 v189, v158, 0x2fb7, -v121
	;; [unrolled: 2-line block ×4, first 2 shown]
	v_add_f16_e64 v32, v178, v32
	v_add_f16_e64 v33, v179, v33
	;; [unrolled: 1-line block ×8, first 2 shown]
	v_fma_f16 v194, 0xbbc4, v136, v95
	v_fma_f16 v195, v157, 0xbbc4, -v103
	v_fma_f16 v196, 0x3b15, v136, v110
	v_fma_f16 v197, v157, 0x3b15, -v113
	;; [unrolled: 2-line block ×4, first 2 shown]
	v_add_f16_e64 v32, v186, v32
	v_add_f16_e64 v33, v187, v33
	;; [unrolled: 1-line block ×16, first 2 shown]
	v_lshrrev_b32_e32 v72, 1, v63
	s_and_saveexec_b32 s1, s0
	s_cbranch_execz .LBB0_5
; %bb.4:
	v_mul_f16_e64 v179, 0xb9fd, v132
	v_mul_f16_e64 v185, 0x2fb7, v134
	;; [unrolled: 1-line block ×5, first 2 shown]
	v_fma_f16 v184, 0x394e, v92, v179
	v_fma_f16 v189, 0xbbf1, v107, v185
	v_mul_f16_e64 v202, 0xb5ac, v157
	v_mul_f16_e64 v164, 0x3b15, v132
	;; [unrolled: 1-line block ×3, first 2 shown]
	v_add_f16_e64 v184, v26, v184
	v_mul_f16_e64 v168, 0x2fb7, v132
	v_mul_f16_e64 v170, 0xb5ac, v132
	;; [unrolled: 1-line block ×4, first 2 shown]
	v_add_f16_e64 v184, v189, v184
	v_fma_f16 v189, 0x3a95, v108, v190
	v_mul_f16_e64 v172, 0x388b, v134
	v_mul_f16_e64 v174, 0xb5ac, v134
	;; [unrolled: 1-line block ×4, first 2 shown]
	v_add_f16_e64 v184, v189, v184
	v_fma_f16 v189, 0xb3a8, v129, v194
	v_fma_f16 v207, 0xb9fd, v23, v205
	v_mul_f16_e64 v208, 0x3bf1, v125
	v_mul_f16_e64 v134, 0x3b15, v134
	;; [unrolled: 1-line block ×3, first 2 shown]
	v_add_f16_e64 v184, v189, v184
	v_fma_f16 v189, 0xb770, v137, v198
	v_mul_f16_e64 v183, 0xbbc4, v159
	v_mul_f16_e64 v187, 0xb5ac, v159
	;; [unrolled: 1-line block ×3, first 2 shown]
	v_add_f16_e64 v207, v12, v207
	v_add_f16_e64 v184, v189, v184
	v_fma_f16 v189, 0x3b7b, v149, v202
	v_fma_f16 v209, 0x2fb7, v24, v208
	v_mul_f16_e64 v210, 0xba95, v128
	v_fma_f16 v211, 0xb770, v107, v134
	v_mul_f16_e64 v159, 0xb9fd, v159
	v_add_f16_e64 v184, v189, v184
	v_fma_f16 v189, 0x33a8, v92, v132
	v_mul_f16_e64 v193, 0xb5ac, v162
	v_mul_f16_e64 v196, 0xb9fd, v162
	;; [unrolled: 1-line block ×4, first 2 shown]
	v_add_f16_e64 v189, v26, v189
	v_add_f16_e64 v207, v209, v207
	v_fma_f16 v209, 0x388b, v104, v210
	v_mul_f16_e64 v212, 0x33a8, v156
	v_mul_f16_e64 v162, 0x388b, v162
	v_add_f16_e64 v189, v211, v189
	v_fma_f16 v211, 0x394e, v108, v159
	v_add_f16_e64 v207, v209, v207
	v_fma_f16 v209, 0xbbc4, v118, v212
	v_mul_f16_e64 v213, 0x3770, v160
	v_mul_f16_e64 v214, 0xb5ac, v158
	v_add_f16_e64 v189, v211, v189
	v_fma_f16 v211, 0xba95, v129, v162
	;; [unrolled: 6-line block ×3, first 2 shown]
	v_mul_f16_e32 v116, 0xb3a8, v116
	v_add_f16_e64 v207, v209, v207
	v_fma_f16 v209, 0xb5ac, v136, v215
	v_mul_f16_e32 v125, 0x3770, v125
	v_add_f16_e64 v189, v211, v189
	v_fma_f16 v211, 0xbbf1, v149, v216
	v_fma_f16 v217, 0xbbc4, v23, v116
	v_fma_f16 v116, v23, 0xbbc4, -v116
	v_add_f16_e64 v207, v209, v207
	v_mul_f16_e64 v128, 0xb94e, v128
	v_add_f16_e64 v189, v211, v189
	v_add_f16_e64 v209, v12, v217
	v_fma_f16 v211, 0x3b15, v24, v125
	v_add_f16_e32 v116, v12, v116
	v_fma_f16 v125, v24, 0x3b15, -v125
	v_mul_f16_e64 v156, 0x3a95, v156
	v_mul_f16_e64 v163, 0x3b15, v23
	v_add_f16_e64 v209, v211, v209
	v_fma_f16 v211, 0xb9fd, v104, v128
	v_add_f16_e32 v116, v125, v116
	v_fma_f16 v128, v104, 0xb9fd, -v128
	v_mul_f16_e64 v165, 0x388b, v23
	v_mul_f16_e64 v167, 0x2fb7, v23
	;; [unrolled: 1-line block ×3, first 2 shown]
	v_fmac_f16_e64 v159, 0xb94e, v108
	v_mul_f16_e64 v160, 0xbb7b, v160
	v_fma_f16 v23, v23, 0xb9fd, -v205
	v_fmac_f16_e64 v190, 0xba95, v108
	v_add_f16_e64 v108, v128, v116
	v_fma_f16 v116, v118, 0x388b, -v156
	v_mul_f16_e64 v171, 0x388b, v24
	v_mul_f16_e64 v173, 0xb5ac, v24
	;; [unrolled: 1-line block ×4, first 2 shown]
	v_add_f16_e32 v23, v12, v23
	v_fma_f16 v24, v24, 0x2fb7, -v208
	v_add_f16_e32 v108, v116, v108
	v_fma_f16 v116, v133, 0xb5ac, -v160
	v_fmac_f16_e64 v132, 0xb3a8, v92
	v_sub_f16_e64 v114, v165, v114
	v_add_f16_e32 v23, v24, v23
	v_fma_f16 v24, v104, 0x388b, -v210
	v_add_f16_e32 v108, v116, v108
	v_add_f16_e64 v116, v152, v170
	v_mul_f16_e64 v182, 0xbbc4, v104
	v_mul_f16_e64 v192, 0xb5ac, v118
	;; [unrolled: 1-line block ×5, first 2 shown]
	v_add_f16_e64 v132, v26, v132
	v_fmac_f16_e64 v134, 0x3770, v107
	v_add_f16_e64 v209, v211, v209
	v_fma_f16 v211, 0x388b, v118, v156
	v_add_f16_e32 v23, v24, v23
	v_fma_f16 v24, v118, 0xbbc4, -v212
	v_add_f16_e32 v116, v26, v116
	v_add_f16_e64 v118, v153, v178
	v_add_f16_e32 v114, v12, v114
	v_sub_f16_e64 v115, v173, v115
	v_add_f16_e64 v132, v134, v132
	v_add_f16_e64 v209, v211, v209
	v_fma_f16 v211, 0xb5ac, v133, v160
	v_mul_f16_e64 v161, 0x3bf1, v161
	v_add_f16_e32 v116, v118, v116
	v_add_f16_e64 v118, v154, v191
	v_add_f16_e32 v114, v115, v114
	v_sub_f16_e64 v115, v182, v117
	v_add_f16_e32 v90, v12, v90
	v_add_f16_e32 v43, v26, v43
	v_mul_f16_e64 v204, 0xb9fd, v158
	v_mul_f16_e64 v206, 0x2fb7, v133
	;; [unrolled: 1-line block ×3, first 2 shown]
	v_add_f16_e64 v132, v159, v132
	v_mul_f16_e64 v159, 0x388b, v158
	v_mul_f16_e64 v158, 0xbbc4, v158
	v_add_f16_e64 v209, v211, v209
	v_fma_f16 v211, 0x2fb7, v136, v161
	v_add_f16_e32 v116, v118, v116
	v_add_f16_e64 v118, v150, v201
	v_add_f16_e32 v114, v115, v114
	v_sub_f16_e64 v111, v195, v111
	v_add_f16_e32 v89, v90, v89
	v_add_f16_e32 v42, v43, v42
	v_fmac_f16_e64 v162, 0x3a95, v129
	v_add_f16_e64 v209, v211, v209
	v_mul_f16_e64 v211, 0xbbc4, v157
	v_fmac_f16_e64 v179, 0xb94e, v92
	v_mul_f16_e64 v92, 0x3b15, v157
	v_fmac_f16_e64 v185, 0x3bf1, v107
	v_mul_f16_e64 v107, 0xb9fd, v157
	v_mul_f16_e64 v157, 0x388b, v157
	v_add_f16_e32 v116, v118, v116
	v_add_f16_e64 v118, v151, v158
	v_add_f16_e32 v90, v111, v114
	v_sub_f16_e64 v43, v206, v109
	v_add_f16_e32 v48, v89, v48
	v_add_f16_e32 v41, v42, v41
	v_mul_f16_e64 v203, 0xb9fd, v133
	v_mul_f16_e64 v134, 0x388b, v133
	v_add_f16_e64 v132, v162, v132
	v_mul_f16_e64 v162, 0xbbc4, v133
	v_add_f16_e64 v179, v26, v179
	v_add_f16_e32 v23, v24, v23
	v_fma_f16 v24, v133, 0x3b15, -v213
	v_add_f16_e64 v133, v135, v168
	v_add_f16_e32 v116, v118, v116
	v_add_f16_e64 v118, v155, v157
	v_add_f16_e64 v122, v122, v166
	v_add_f16_e32 v42, v43, v90
	v_add_f16_e64 v43, v97, v164
	v_add_f16_e32 v22, v48, v22
	v_add_f16_e32 v40, v41, v40
	v_fmac_f16_e64 v214, 0xbb7b, v137
	v_add_f16_e64 v179, v185, v179
	v_add_f16_e64 v133, v26, v133
	v_add_f16_e32 v116, v118, v116
	v_sub_f16_e64 v118, v167, v130
	v_add_f16_e32 v122, v26, v122
	v_add_f16_e32 v26, v26, v43
	;; [unrolled: 1-line block ×3, first 2 shown]
	v_add_f16_e64 v22, v98, v172
	v_add_f16_e32 v39, v40, v39
	v_mul_f16_e64 v186, 0xb5ac, v104
	v_add_f16_e64 v132, v214, v132
	v_fmac_f16_e64 v216, 0x3bf1, v149
	v_add_f16_e64 v128, v190, v179
	v_fmac_f16_e64 v194, 0x33a8, v129
	v_add_f16_e32 v23, v24, v23
	v_sub_f16_e64 v24, v169, v148
	v_add_f16_e32 v118, v12, v118
	v_sub_f16_e64 v131, v175, v131
	v_sub_f16_e64 v41, v163, v91
	v_add_f16_e32 v19, v21, v19
	v_add_f16_e32 v21, v22, v26
	;; [unrolled: 1-line block ×3, first 2 shown]
	v_mul_f16_e64 v180, 0x2fb7, v104
	v_mul_f16_e64 v188, 0x3b15, v104
	;; [unrolled: 1-line block ×3, first 2 shown]
	v_add_f16_e64 v132, v216, v132
	v_mul_f16_e64 v216, 0x3b15, v136
	v_mul_f16_e64 v125, 0xb9fd, v136
	;; [unrolled: 1-line block ×3, first 2 shown]
	v_add_f16_e64 v104, v194, v128
	v_fma_f16 v128, v136, 0x2fb7, -v161
	v_fma_f16 v129, v136, 0xb5ac, -v215
	v_add_f16_e32 v24, v12, v24
	v_sub_f16_e64 v135, v177, v142
	v_add_f16_e64 v136, v139, v176
	v_add_f16_e64 v118, v131, v118
	v_sub_f16_e64 v127, v186, v127
	v_add_f16_e64 v123, v123, v174
	v_add_f16_e32 v12, v12, v41
	v_sub_f16_e64 v40, v171, v93
	v_add_f16_e64 v26, v100, v181
	v_add_f16_e32 v18, v19, v18
	v_add_f16_e32 v22, v22, v37
	v_add_f16_e64 v24, v135, v24
	v_sub_f16_e64 v135, v188, v145
	v_add_f16_e64 v133, v136, v133
	v_add_f16_e64 v136, v141, v187
	v_add_f16_e32 v118, v127, v118
	v_sub_f16_e64 v124, v197, v124
	v_add_f16_e32 v122, v123, v122
	v_add_f16_e64 v119, v119, v183
	v_add_f16_e32 v12, v40, v12
	v_sub_f16_e64 v19, v180, v94
	v_add_f16_e32 v21, v26, v21
	v_add_f16_e64 v26, v101, v193
	v_add_f16_e32 v17, v18, v17
	v_add_f16_e32 v18, v22, v36
	v_add_f16_e64 v24, v135, v24
	v_sub_f16_e64 v135, v200, v146
	v_add_f16_e64 v133, v136, v133
	v_add_f16_e64 v136, v143, v199
	v_add_f16_e32 v118, v124, v118
	v_sub_f16_e64 v123, v134, v126
	v_add_f16_e32 v119, v119, v122
	v_add_f16_e64 v120, v120, v196
	v_add_f16_e32 v12, v19, v12
	v_sub_f16_e64 v19, v192, v96
	v_add_f16_e32 v21, v26, v21
	v_add_f16_e32 v16, v17, v16
	v_add_f16_e64 v17, v102, v204
	v_add_f16_e32 v18, v18, v34
	v_add_f16_e64 v24, v135, v24
	v_add_f16_e64 v133, v136, v133
	;; [unrolled: 1-line block ×3, first 2 shown]
	v_add_f16_e32 v117, v123, v118
	v_add_f16_e32 v118, v120, v119
	v_add_f16_e64 v119, v121, v217
	v_add_f16_e32 v12, v19, v12
	v_sub_f16_e64 v19, v203, v99
	v_add_f16_e32 v14, v16, v14
	v_add_f16_e32 v16, v17, v21
	;; [unrolled: 1-line block ×3, first 2 shown]
	v_fmac_f16_e64 v198, 0x3770, v137
	v_sub_f16_e64 v130, v162, v144
	v_add_f16_e64 v133, v135, v133
	v_add_f16_e64 v107, v138, v107
	v_add_f16_e32 v115, v119, v118
	v_add_f16_e32 v92, v113, v92
	v_sub_f16_e32 v109, v125, v112
	v_sub_f16_e64 v48, v216, v110
	v_add_f16_e64 v18, v103, v211
	v_add_f16_e32 v12, v19, v12
	v_add_f16_e32 v14, v14, v15
	v_mul_u32_u24_e32 v15, 26, v72
	v_add_f16_e32 v17, v17, v27
	v_sub_f16_e64 v19, v214, v95
	v_add_f16_e64 v104, v198, v104
	v_fmac_f16_e64 v202, 0xbb7b, v149
	v_add_f16_e64 v24, v130, v24
	v_sub_f16_e64 v130, v205, v147
	v_add_f16_e64 v107, v107, v133
	v_add_f16_e32 v89, v92, v115
	v_add_f16_e32 v16, v18, v16
	;; [unrolled: 1-line block ×3, first 2 shown]
	v_or_b32_e32 v14, v15, v71
	v_add_f16_e32 v15, v17, v28
	v_add_f16_e32 v12, v19, v12
	v_add_f16_e32 v17, v48, v42
	v_add_f16_e32 v18, v109, v117
	v_add_f16_e64 v104, v202, v104
	v_lshlrev_b32_e32 v14, 2, v14
	v_pack_b32_f16 v13, v13, v15
	v_pack_b32_f16 v12, v12, v16
	;; [unrolled: 1-line block ×4, first 2 shown]
	v_add_f16_e64 v17, v130, v24
	v_add_f16_e64 v18, v129, v23
	;; [unrolled: 1-line block ×3, first 2 shown]
	ds_store_2addr_b32 v14, v13, v12 offset1:2
	ds_store_2addr_b32 v14, v15, v16 offset0:4 offset1:6
	v_pack_b32_f16 v16, v209, v189
	v_pack_b32_f16 v12, v17, v116
	;; [unrolled: 1-line block ×5, first 2 shown]
	v_perm_b32 v18, v33, v32, 0x5040100
	v_perm_b32 v19, v47, v44, 0x5040100
	;; [unrolled: 1-line block ×4, first 2 shown]
	ds_store_2addr_b32 v14, v12, v13 offset0:8 offset1:10
	ds_store_2addr_b32 v14, v15, v16 offset0:12 offset1:14
	;; [unrolled: 1-line block ×4, first 2 shown]
	ds_store_b32 v14, v22 offset:96
.LBB0_5:
	s_wait_alu 0xfffe
	s_or_b32 exec_lo, exec_lo, s1
	v_add_nc_u32_e32 v12, 0x300, v52
	v_add_nc_u32_e32 v16, 0xc00, v52
	;; [unrolled: 1-line block ×3, first 2 shown]
	global_wb scope:SCOPE_SE
	s_wait_dscnt 0x0
	s_barrier_signal -1
	s_barrier_wait -1
	global_inv scope:SCOPE_SE
	ds_load_2addr_b32 v[14:15], v52 offset1:117
	ds_load_2addr_b32 v[12:13], v12 offset0:42 offset1:198
	ds_load_2addr_b32 v[18:19], v16 offset0:12 offset1:129
	;; [unrolled: 1-line block ×3, first 2 shown]
	ds_load_b32 v36, v52 offset:4056
	v_cmp_gt_u16_e32 vcc_lo, 39, v63
	s_and_saveexec_b32 s1, vcc_lo
	s_cbranch_execz .LBB0_7
; %bb.6:
	ds_load_b32 v32, v52 offset:1404
	ds_load_b32 v44, v52 offset:2964
	;; [unrolled: 1-line block ×3, first 2 shown]
	s_wait_dscnt 0x2
	v_lshrrev_b32_e32 v33, 16, v32
	s_wait_dscnt 0x1
	v_lshrrev_b32_e32 v47, 16, v44
	;; [unrolled: 2-line block ×3, first 2 shown]
.LBB0_7:
	s_wait_alu 0xfffe
	s_or_b32 exec_lo, exec_lo, s1
	v_and_b32_e32 v21, 0xff, v63
	v_and_b32_e32 v22, 0xff, v31
	v_and_b32_e32 v23, 0xffff, v25
	v_and_b32_e32 v24, 0xffff, v29
	s_wait_dscnt 0x3
	v_lshrrev_b32_e32 v94, 16, v13
	v_mul_lo_u16 v21, 0x4f, v21
	v_mul_lo_u16 v22, 0x4f, v22
	v_mul_u32_u24_e32 v23, 0x4ec5, v23
	s_wait_dscnt 0x2
	v_lshrrev_b32_e32 v103, 16, v18
	s_wait_dscnt 0x1
	v_lshrrev_b32_e32 v107, 16, v16
	v_lshrrev_b16 v37, 11, v21
	v_mul_u32_u24_e32 v21, 0x4ec5, v24
	v_lshrrev_b16 v38, 11, v22
	v_lshrrev_b32_e32 v39, 19, v23
	v_lshrrev_b32_e32 v108, 16, v19
	v_mul_lo_u16 v22, v37, 26
	v_lshrrev_b32_e32 v40, 19, v21
	v_mul_lo_u16 v21, v38, 26
	v_mul_lo_u16 v23, v39, 26
	v_and_b32_e32 v37, 0xffff, v37
	v_sub_nc_u16 v22, v63, v22
	v_mul_lo_u16 v24, v40, 26
	v_sub_nc_u16 v21, v31, v21
	v_sub_nc_u16 v41, v25, v23
	v_and_b32_e32 v38, 0xffff, v38
	v_and_b32_e32 v42, 0xff, v22
	v_sub_nc_u16 v43, v29, v24
	v_and_b32_e32 v48, 0xff, v21
	v_lshlrev_b16 v21, 3, v41
	v_mad_u16 v39, 0x4e, v39, v41
	v_lshlrev_b32_e32 v22, 3, v42
	v_lshlrev_b16 v23, 3, v43
	v_lshlrev_b32_e32 v24, 3, v48
	v_and_b32_e32 v21, 0xffff, v21
	v_mul_u32_u24_e32 v37, 0x4e, v37
	global_load_b64 v[27:28], v22, s[10:11] offset:96
	v_and_b32_e32 v23, 0xffff, v23
	global_load_b64 v[25:26], v24, s[10:11] offset:96
	v_add_co_u32 v21, s1, s10, v21
	s_wait_alu 0xf1ff
	v_add_co_ci_u32_e64 v22, null, s11, 0, s1
	v_add_co_u32 v34, s1, s10, v23
	s_wait_alu 0xf1ff
	v_add_co_ci_u32_e64 v35, null, s11, 0, s1
	s_clause 0x1
	global_load_b64 v[23:24], v[21:22], off offset:96
	global_load_b64 v[21:22], v[34:35], off offset:96
	v_mul_u32_u24_e32 v38, 0x4e, v38
	v_and_b32_e32 v39, 0xffff, v39
	v_lshrrev_b32_e32 v109, 16, v17
	s_wait_dscnt 0x0
	v_lshrrev_b32_e32 v110, 16, v36
	v_mad_u16 v89, 0x4e, v40, v43
	v_add_lshl_u32 v92, v37, v42, 2
	v_add_lshl_u32 v91, v38, v48, 2
	v_lshlrev_b32_e32 v90, 2, v39
	v_lshrrev_b32_e32 v93, 16, v14
	v_lshrrev_b32_e32 v104, 16, v15
	;; [unrolled: 1-line block ×3, first 2 shown]
	v_lshlrev_b32_e32 v35, 1, v63
	v_lshlrev_b32_e32 v34, 1, v31
	global_wb scope:SCOPE_SE
	s_wait_loadcnt 0x0
	s_barrier_signal -1
	s_barrier_wait -1
	global_inv scope:SCOPE_SE
	v_lshrrev_b32_e32 v102, 16, v27
	v_lshrrev_b32_e32 v101, 16, v28
	;; [unrolled: 1-line block ×4, first 2 shown]
	s_delay_alu instid0(VALU_DEP_4)
	v_mul_f16_e32 v37, v94, v102
	v_mul_f16_e32 v38, v13, v102
	;; [unrolled: 1-line block ×8, first 2 shown]
	v_lshrrev_b32_e32 v99, 16, v23
	v_lshrrev_b32_e32 v97, 16, v24
	v_lshrrev_b32_e32 v96, 16, v21
	v_lshrrev_b32_e32 v95, 16, v22
	v_fma_f16 v37, v13, v27, -v37
	v_fmac_f16_e32 v38, v94, v27
	v_fma_f16 v39, v18, v28, -v39
	v_fmac_f16_e32 v40, v103, v28
	;; [unrolled: 2-line block ×4, first 2 shown]
	v_mul_f16_e32 v18, v109, v99
	v_mul_f16_e32 v48, v17, v99
	;; [unrolled: 1-line block ×8, first 2 shown]
	v_fma_f16 v112, v17, v23, -v18
	v_fmac_f16_e32 v48, v109, v23
	v_fma_f16 v36, v36, v24, -v94
	v_fmac_f16_e32 v103, v110, v24
	;; [unrolled: 2-line block ×3, first 2 shown]
	v_fma_f16 v17, v45, v22, -v108
	v_add_f16_e32 v44, v14, v37
	v_add_f16_e32 v45, v37, v39
	;; [unrolled: 1-line block ×3, first 2 shown]
	v_fmac_f16_e32 v13, v46, v22
	v_sub_f16_e32 v46, v38, v40
	v_add_f16_e32 v38, v38, v40
	v_add_f16_e32 v107, v42, v19
	v_sub_f16_e32 v108, v43, v111
	v_add_f16_e32 v109, v104, v43
	v_add_f16_e32 v43, v43, v111
	;; [unrolled: 3-line block ×3, first 2 shown]
	v_fma_f16 v14, -0.5, v45, v14
	v_add_f16_e32 v40, v47, v40
	v_add_f16_e32 v44, v112, v36
	v_sub_f16_e32 v45, v48, v103
	v_add_f16_e32 v47, v41, v48
	v_add_f16_e32 v48, v48, v103
	v_sub_f16_e32 v42, v42, v19
	v_fmac_f16_e32 v93, -0.5, v38
	v_fmac_f16_e32 v15, -0.5, v107
	v_fmac_f16_e32 v104, -0.5, v43
	v_add_f16_e32 v107, v18, v17
	v_add_f16_e32 v110, v16, v13
	;; [unrolled: 1-line block ×5, first 2 shown]
	v_sub_f16_e32 v94, v112, v36
	v_fmac_f16_e32 v12, -0.5, v44
	v_fmac_f16_e32 v41, -0.5, v48
	v_sub_f16_e32 v109, v16, v13
	v_sub_f16_e32 v111, v18, v17
	v_fmamk_f16 v112, v46, 0x3aee, v14
	v_fmac_f16_e32 v14, 0xbaee, v46
	v_fmamk_f16 v46, v37, 0xbaee, v93
	v_fmac_f16_e32 v93, 0x3aee, v37
	;; [unrolled: 2-line block ×4, first 2 shown]
	v_add_f16_e32 v42, v47, v103
	v_fma_f16 v47, -0.5, v107, v32
	v_fma_f16 v48, -0.5, v110, v33
	v_add_f16_e32 v36, v43, v36
	v_pack_b32_f16 v39, v39, v40
	v_pack_b32_f16 v19, v19, v38
	v_fmamk_f16 v38, v45, 0x3aee, v12
	v_fmamk_f16 v40, v94, 0xbaee, v41
	v_fmac_f16_e32 v12, 0xbaee, v45
	v_fmac_f16_e32 v41, 0x3aee, v94
	v_fmamk_f16 v121, v109, 0x3aee, v47
	v_fmac_f16_e32 v47, 0xbaee, v109
	v_fmamk_f16 v122, v111, 0xbaee, v48
	v_fmac_f16_e32 v48, 0x3aee, v111
	v_pack_b32_f16 v43, v112, v46
	v_pack_b32_f16 v14, v14, v93
	;; [unrolled: 1-line block ×7, first 2 shown]
	ds_store_2addr_b32 v92, v39, v43 offset1:26
	ds_store_b32 v92, v14 offset:208
	ds_store_2addr_b32 v91, v19, v37 offset1:26
	ds_store_b32 v91, v15 offset:208
	;; [unrolled: 2-line block ×3, first 2 shown]
	s_and_saveexec_b32 s1, vcc_lo
	s_cbranch_execz .LBB0_9
; %bb.8:
	v_add_f16_e32 v12, v33, v16
	v_add_f16_e32 v14, v32, v18
	v_and_b32_e32 v15, 0xffff, v89
	s_delay_alu instid0(VALU_DEP_3) | instskip(NEXT) | instid1(VALU_DEP_3)
	v_add_f16_e32 v12, v12, v13
	v_add_f16_e32 v13, v14, v17
	v_perm_b32 v14, v122, v121, 0x5040100
	s_delay_alu instid0(VALU_DEP_4) | instskip(NEXT) | instid1(VALU_DEP_3)
	v_lshlrev_b32_e32 v15, 2, v15
	v_pack_b32_f16 v12, v13, v12
	v_perm_b32 v13, v48, v47, 0x5040100
	ds_store_2addr_b32 v15, v12, v14 offset1:26
	ds_store_b32 v15, v13 offset:208
.LBB0_9:
	s_wait_alu 0xfffe
	s_or_b32 exec_lo, exec_lo, s1
	v_add_co_u32 v12, s1, 0xffffffb2, v63
	s_wait_alu 0xf1ff
	v_add_co_ci_u32_e64 v13, null, 0, -1, s1
	v_cmp_gt_u16_e64 s1, 0x4e, v63
	v_lshrrev_b16 v14, 1, v31
	global_wb scope:SCOPE_SE
	s_wait_dscnt 0x0
	s_barrier_signal -1
	s_barrier_wait -1
	s_wait_alu 0xf1ff
	v_cndmask_b32_e64 v33, v13, 0, s1
	v_cndmask_b32_e64 v32, v12, v63, s1
	global_inv scope:SCOPE_SE
	v_add_nc_u32_e32 v38, 0x200, v52
	v_add_nc_u32_e32 v123, 0x600, v52
	;; [unrolled: 1-line block ×3, first 2 shown]
	v_lshlrev_b64_e32 v[12:13], 4, v[32:33]
	v_add_nc_u32_e32 v44, 0xe00, v52
	ds_load_2addr_b32 v[36:37], v52 offset1:117
	v_add_nc_u32_e32 v103, 0x300, v52
	v_add_nc_u32_e32 v104, 0xc00, v52
	v_add_co_u32 v12, s1, s10, v12
	s_wait_alu 0xf1ff
	v_add_co_ci_u32_e64 v13, s1, s11, v13, s1
	v_cmp_lt_u16_e64 s1, 0x4d, v63
	global_load_b128 v[16:19], v[12:13], off offset:304
	v_and_b32_e32 v12, 0x7f, v14
	s_wait_alu 0xf1ff
	v_cndmask_b32_e64 v46, 0, 0x186, s1
	s_delay_alu instid0(VALU_DEP_2) | instskip(NEXT) | instid1(VALU_DEP_2)
	v_mul_lo_u16 v12, 0xd3, v12
	v_add_lshl_u32 v93, v32, v46, 2
	s_wait_dscnt 0x0
	v_lshrrev_b32_e32 v32, 16, v36
	v_lshrrev_b32_e32 v46, 16, v37
	v_lshrrev_b16 v33, 13, v12
	s_delay_alu instid0(VALU_DEP_1) | instskip(SKIP_1) | instid1(VALU_DEP_2)
	v_mul_lo_u16 v12, 0x4e, v33
	v_and_b32_e32 v33, 0xffff, v33
	v_sub_nc_u16 v12, v31, v12
	s_delay_alu instid0(VALU_DEP_2) | instskip(NEXT) | instid1(VALU_DEP_2)
	v_mul_u32_u24_e32 v33, 0x186, v33
	v_and_b32_e32 v31, 0xff, v12
	s_delay_alu instid0(VALU_DEP_1) | instskip(NEXT) | instid1(VALU_DEP_3)
	v_lshlrev_b32_e32 v12, 4, v31
	v_add_lshl_u32 v94, v33, v31, 2
	global_load_b128 v[12:15], v12, s[10:11] offset:304
	ds_load_2addr_b32 v[38:39], v38 offset0:106 offset1:223
	ds_load_2addr_b32 v[40:41], v123 offset0:84 offset1:201
	;; [unrolled: 1-line block ×4, first 2 shown]
	global_wb scope:SCOPE_SE
	s_wait_loadcnt_dscnt 0x0
	s_barrier_signal -1
	s_barrier_wait -1
	global_inv scope:SCOPE_SE
	v_lshrrev_b32_e32 v107, 16, v38
	v_lshrrev_b32_e32 v108, 16, v40
	;; [unrolled: 1-line block ×12, first 2 shown]
	s_delay_alu instid0(VALU_DEP_4)
	v_mul_f16_e32 v31, v107, v117
	v_mul_f16_e32 v33, v38, v117
	v_mul_f16_e32 v113, v108, v118
	v_mul_f16_e32 v126, v40, v118
	v_mul_f16_e32 v115, v109, v116
	v_mul_f16_e32 v127, v42, v116
	v_mul_f16_e32 v119, v110, v114
	v_mul_f16_e64 v128, v44, v114
	v_fma_f16 v31, v38, v16, -v31
	v_fmac_f16_e32 v33, v107, v16
	v_fma_f16 v38, v40, v17, -v113
	v_fmac_f16_e32 v126, v108, v17
	v_fma_f16 v40, v42, v18, -v115
	v_fmac_f16_e64 v128, v110, v19
	v_fmac_f16_e32 v127, v109, v18
	v_fma_f16 v42, v44, v19, -v119
	v_add_f16_e32 v44, v36, v31
	v_add_f16_e32 v107, v38, v40
	v_sub_f16_e32 v110, v31, v38
	v_sub_f16_e64 v131, v38, v31
	v_sub_f16_e64 v129, v42, v40
	v_add_f16_e64 v130, v31, v42
	v_sub_f16_e64 v132, v40, v42
	v_add_f16_e64 v133, v32, v33
	v_add_f16_e64 v134, v126, v127
	v_sub_f16_e64 v136, v33, v126
	v_sub_f16_e64 v137, v128, v127
	v_add_f16_e64 v138, v33, v128
	v_sub_f16_e64 v108, v33, v128
	v_sub_f16_e32 v33, v126, v33
	v_sub_f16_e64 v139, v127, v128
	v_lshrrev_b32_e32 v120, 16, v12
	v_lshrrev_b32_e32 v119, 16, v13
	;; [unrolled: 1-line block ×4, first 2 shown]
	v_sub_f16_e32 v109, v126, v127
	v_sub_f16_e64 v135, v38, v40
	v_add_f16_e32 v38, v44, v38
	v_fma_f16 v44, -0.5, v107, v36
	v_add_f16_e64 v107, v110, v129
	v_fma_f16 v36, -0.5, v130, v36
	v_add_f16_e64 v110, v131, v132
	v_add_f16_e64 v126, v133, v126
	v_fma_f16 v129, -0.5, v134, v32
	v_add_f16_e64 v130, v136, v137
	v_fmac_f16_e64 v32, -0.5, v138
	v_mul_f16_e64 v131, v111, v120
	v_mul_f16_e64 v133, v112, v119
	;; [unrolled: 1-line block ×6, first 2 shown]
	v_sub_f16_e32 v31, v31, v42
	v_add_f16_e64 v33, v33, v139
	v_mul_f16_e64 v132, v39, v120
	v_mul_f16_e64 v139, v45, v113
	v_add_f16_e32 v38, v38, v40
	v_fma_f16 v140, 0xbb9c, v109, v36
	v_fmac_f16_e32 v36, 0x3b9c, v109
	v_add_f16_e32 v126, v126, v127
	v_fma_f16 v142, 0x3b9c, v135, v32
	v_fmac_f16_e64 v32, 0xbb9c, v135
	v_fma_f16 v39, v39, v12, -v131
	v_fma_f16 v41, v41, v13, -v133
	v_fmac_f16_e64 v134, v112, v13
	v_fma_f16 v43, v43, v14, -v136
	v_fmac_f16_e64 v137, v124, v14
	v_fma_f16 v45, v45, v15, -v138
	v_fmamk_f16 v40, v108, 0x3b9c, v44
	v_fmac_f16_e32 v44, 0xbb9c, v108
	v_fma_f16 v141, 0xbb9c, v31, v129
	v_fmac_f16_e64 v129, 0x3b9c, v31
	v_fmac_f16_e64 v132, v111, v12
	;; [unrolled: 1-line block ×3, first 2 shown]
	v_add_f16_e32 v38, v38, v42
	v_fmac_f16_e64 v140, 0x38b4, v108
	v_fmac_f16_e32 v36, 0xb8b4, v108
	v_add_f16_e64 v42, v126, v128
	v_fmac_f16_e64 v142, 0xb8b4, v31
	v_fmac_f16_e32 v32, 0x38b4, v31
	v_add_f16_e32 v31, v37, v39
	v_add_f16_e32 v108, v41, v43
	v_sub_f16_e32 v127, v41, v39
	v_sub_f16_e64 v128, v43, v45
	v_add_f16_e64 v133, v134, v137
	v_fmac_f16_e32 v44, 0xb8b4, v109
	v_fmac_f16_e64 v129, 0x38b4, v135
	v_add_f16_e32 v125, v39, v45
	v_add_f16_e64 v143, v132, v139
	v_fmac_f16_e32 v40, 0x38b4, v109
	v_fmac_f16_e64 v141, 0xb8b4, v135
	v_sub_f16_e64 v109, v132, v139
	v_sub_f16_e32 v112, v39, v41
	v_sub_f16_e32 v124, v45, v43
	v_add_f16_e64 v131, v46, v132
	v_sub_f16_e32 v39, v39, v45
	v_sub_f16_e64 v135, v41, v43
	v_add_f16_e32 v31, v31, v41
	v_fma_f16 v126, -0.5, v108, v37
	v_add_f16_e64 v41, v127, v128
	v_fma_f16 v127, -0.5, v133, v46
	v_sub_f16_e64 v111, v134, v137
	v_fmac_f16_e32 v44, 0x34f2, v107
	v_fmac_f16_e32 v36, 0x34f2, v110
	v_fmac_f16_e64 v129, 0x34f2, v130
	v_fmac_f16_e32 v32, 0x34f2, v33
	v_fmac_f16_e32 v37, -0.5, v125
	v_fmac_f16_e64 v46, -0.5, v143
	v_sub_f16_e64 v136, v132, v134
	v_sub_f16_e64 v138, v139, v137
	v_fmac_f16_e32 v40, 0x34f2, v107
	v_fmac_f16_e64 v141, 0x34f2, v130
	v_fmac_f16_e64 v142, 0x34f2, v33
	v_pack_b32_f16 v33, v38, v42
	v_add_f16_e32 v38, v112, v124
	v_add_f16_e64 v42, v131, v134
	v_add_f16_e32 v31, v31, v43
	v_fmamk_f16 v43, v109, 0x3b9c, v126
	v_fmamk_f16 v112, v39, 0xbb9c, v127
	v_sub_f16_e64 v132, v134, v132
	v_sub_f16_e64 v144, v137, v139
	v_pack_b32_f16 v32, v36, v32
	v_pack_b32_f16 v36, v44, v129
	v_fmamk_f16 v44, v111, 0xbb9c, v37
	v_fmac_f16_e32 v37, 0x3b9c, v111
	v_fma_f16 v124, 0x3b9c, v135, v46
	v_fmac_f16_e64 v46, 0xbb9c, v135
	v_fmac_f16_e32 v126, 0xbb9c, v109
	v_fmac_f16_e32 v127, 0x3b9c, v39
	v_add_f16_e64 v107, v136, v138
	v_pack_b32_f16 v40, v40, v141
	v_add_f16_e64 v42, v42, v137
	v_fmac_f16_e32 v43, 0x38b4, v111
	v_fmac_f16_e64 v112, 0xb8b4, v135
	v_add_f16_e64 v108, v132, v144
	v_fmac_f16_e32 v44, 0x38b4, v109
	v_fmac_f16_e32 v37, 0xb8b4, v109
	;; [unrolled: 1-line block ×5, first 2 shown]
	v_fmac_f16_e64 v127, 0x38b4, v135
	v_fmac_f16_e64 v140, 0x34f2, v110
	ds_store_2addr_b32 v93, v33, v40 offset1:78
	v_add_f16_e32 v31, v31, v45
	v_add_f16_e64 v33, v42, v139
	v_fmac_f16_e32 v43, 0x34f2, v38
	v_fmac_f16_e32 v112, 0x34f2, v107
	;; [unrolled: 1-line block ×8, first 2 shown]
	v_pack_b32_f16 v110, v140, v142
	v_pack_b32_f16 v31, v31, v33
	;; [unrolled: 1-line block ×6, first 2 shown]
	ds_store_2addr_b32 v93, v110, v32 offset0:156 offset1:234
	ds_store_b32 v93, v36 offset:1248
	ds_store_2addr_b32 v94, v31, v33 offset1:78
	ds_store_2addr_b32 v94, v38, v37 offset0:156 offset1:234
	ds_store_b32 v94, v39 offset:1248
	global_wb scope:SCOPE_SE
	s_wait_dscnt 0x0
	s_barrier_signal -1
	s_barrier_wait -1
	global_inv scope:SCOPE_SE
	ds_load_2addr_b32 v[39:40], v52 offset1:117
	ds_load_2addr_b32 v[41:42], v103 offset0:42 offset1:198
	ds_load_2addr_b32 v[45:46], v104 offset0:12 offset1:129
	;; [unrolled: 1-line block ×3, first 2 shown]
	ds_load_b32 v125, v52 offset:4056
	v_add_co_u32 v37, s1, s8, v52
	s_wait_alu 0xf1ff
	v_add_co_ci_u32_e64 v38, null, s9, 0, s1
	s_and_saveexec_b32 s1, vcc_lo
	s_cbranch_execz .LBB0_11
; %bb.10:
	ds_load_b32 v126, v52 offset:1404
	ds_load_b32 v121, v52 offset:2964
	;; [unrolled: 1-line block ×3, first 2 shown]
	s_wait_dscnt 0x2
	v_lshrrev_b32_e32 v127, 16, v126
	s_wait_dscnt 0x1
	v_lshrrev_b32_e32 v122, 16, v121
	s_wait_dscnt 0x0
	v_lshrrev_b32_e32 v48, 16, v47
.LBB0_11:
	s_wait_alu 0xfffe
	s_or_b32 exec_lo, exec_lo, s1
	v_lshlrev_b32_e32 v31, 2, v35
	v_add_co_u32 v35, s1, 0xffffffd9, v63
	s_wait_alu 0xf1ff
	v_add_co_ci_u32_e64 v36, null, 0, -1, s1
	s_delay_alu instid0(VALU_DEP_2) | instskip(SKIP_2) | instid1(VALU_DEP_3)
	v_dual_cndmask_b32 v29, v35, v29 :: v_dual_lshlrev_b32 v32, 2, v34
	s_wait_dscnt 0x3
	v_lshrrev_b32_e32 v103, 16, v42
	v_cndmask_b32_e32 v30, v36, v30, vcc_lo
	s_clause 0x1
	global_load_b64 v[33:34], v31, s[10:11] offset:1552
	global_load_b64 v[31:32], v32, s[10:11] offset:1552
	s_wait_dscnt 0x2
	v_lshrrev_b32_e32 v104, 16, v45
	s_wait_dscnt 0x1
	v_lshrrev_b32_e32 v111, 16, v43
	v_lshrrev_b32_e32 v112, 16, v46
	v_lshlrev_b64_e32 v[29:30], 3, v[29:30]
	v_lshrrev_b32_e32 v128, 16, v39
	v_lshrrev_b32_e32 v129, 16, v40
	;; [unrolled: 1-line block ×3, first 2 shown]
	s_wait_dscnt 0x0
	v_lshrrev_b32_e32 v132, 16, v125
	v_lshrrev_b32_e32 v130, 16, v41
	v_add_co_u32 v29, s1, s10, v29
	s_wait_alu 0xf1ff
	v_add_co_ci_u32_e64 v30, s1, s11, v30, s1
	v_add_nc_u32_e32 v124, 0xea0, v76
	s_clause 0x1
	global_load_b64 v[29:30], v[29:30], off offset:1552
	global_load_b64 v[35:36], v74, s[10:11] offset:1552
	s_wait_loadcnt 0x3
	v_lshrrev_b32_e32 v110, 16, v33
	v_lshrrev_b32_e32 v109, 16, v34
	s_wait_loadcnt 0x2
	v_lshrrev_b32_e32 v108, 16, v31
	v_lshrrev_b32_e32 v107, 16, v32
	v_mul_f16_e64 v133, v103, v110
	v_mul_f16_e64 v134, v42, v110
	;; [unrolled: 1-line block ×8, first 2 shown]
	v_fma_f16 v42, v42, v33, -v133
	v_fmac_f16_e64 v134, v103, v33
	v_fma_f16 v45, v45, v34, -v135
	v_fmac_f16_e64 v136, v104, v34
	;; [unrolled: 2-line block ×3, first 2 shown]
	v_fmac_f16_e64 v140, v112, v32
	v_fma_f16 v46, v46, v32, -v139
	v_add_f16_e64 v133, v39, v42
	v_add_f16_e64 v135, v42, v45
	v_sub_f16_e64 v137, v134, v136
	v_add_f16_e64 v139, v128, v134
	v_add_f16_e64 v134, v134, v136
	v_sub_f16_e64 v141, v42, v45
	v_add_f16_e32 v42, v40, v43
	v_sub_f16_e64 v143, v138, v140
	v_add_f16_e64 v144, v129, v138
	v_add_f16_e64 v138, v138, v140
	s_wait_loadcnt 0x0
	v_lshrrev_b32_e32 v112, 16, v35
	v_lshrrev_b32_e32 v111, 16, v36
	v_add_f16_e64 v142, v43, v46
	v_lshrrev_b32_e32 v104, 16, v29
	v_lshrrev_b32_e32 v103, 16, v30
	v_sub_f16_e64 v145, v43, v46
	v_add_f16_e64 v45, v133, v45
	v_fma_f16 v39, -0.5, v135, v39
	v_add_f16_e64 v133, v139, v136
	v_fmac_f16_e64 v128, -0.5, v134
	v_add_f16_e32 v46, v42, v46
	v_add_f16_e64 v134, v144, v140
	v_fmac_f16_e64 v129, -0.5, v138
	v_mul_f16_e64 v135, v131, v112
	v_mul_f16_e64 v136, v44, v112
	;; [unrolled: 1-line block ×4, first 2 shown]
	v_fmac_f16_e64 v40, -0.5, v142
	v_mul_f16_e64 v140, v122, v104
	v_mul_f16_e32 v43, v121, v104
	v_mul_f16_e64 v142, v48, v103
	v_mul_f16_e32 v42, v47, v103
	v_pack_b32_f16 v46, v46, v134
	v_fma_f16 v134, v44, v35, -v135
	v_fmac_f16_e64 v136, v131, v35
	v_fma_f16 v125, v125, v36, -v138
	v_fmac_f16_e64 v139, v132, v36
	v_fma_f16 v144, 0x3aee, v137, v39
	v_fmac_f16_e64 v39, 0xbaee, v137
	v_fma_f16 v137, 0xbaee, v141, v128
	v_fmac_f16_e64 v128, 0x3aee, v141
	v_fma_f16 v141, 0x3aee, v143, v40
	v_fmac_f16_e64 v40, 0xbaee, v143
	v_fma_f16 v143, 0xbaee, v145, v129
	v_fmac_f16_e64 v129, 0x3aee, v145
	v_pack_b32_f16 v133, v45, v133
	v_fma_f16 v44, v121, v29, -v140
	v_fmac_f16_e32 v43, v122, v29
	v_fma_f16 v45, v47, v30, -v142
	v_fmac_f16_e32 v42, v48, v30
	v_add_f16_e64 v122, v134, v125
	v_add_f16_e64 v131, v136, v139
	v_pack_b32_f16 v47, v144, v137
	v_pack_b32_f16 v39, v39, v128
	;; [unrolled: 1-line block ×3, first 2 shown]
	v_add_f16_e64 v40, v41, v134
	v_sub_f16_e64 v128, v136, v139
	v_add_f16_e64 v129, v130, v136
	v_sub_f16_e64 v132, v134, v125
	v_add_f16_e64 v134, v44, v45
	v_add_f16_e64 v136, v43, v42
	v_fmac_f16_e32 v41, -0.5, v122
	v_fmac_f16_e64 v130, -0.5, v131
	v_sub_f16_e64 v135, v43, v42
	v_sub_f16_e64 v137, v44, v45
	ds_store_b32 v52, v47 offset:1560
	ds_store_b32 v52, v39 offset:3120
	ds_store_2addr_b32 v52, v133, v46 offset1:117
	v_add_f16_e32 v46, v40, v125
	v_fma_f16 v40, -0.5, v134, v126
	v_fma_f16 v122, -0.5, v136, v127
	v_add_f16_e64 v47, v129, v139
	v_fma_f16 v129, 0x3aee, v128, v41
	v_fmac_f16_e64 v41, 0xbaee, v128
	v_fma_f16 v128, 0xbaee, v132, v130
	v_fmac_f16_e64 v130, 0x3aee, v132
	;; [unrolled: 2-line block ×4, first 2 shown]
	v_pack_b32_f16 v46, v46, v47
	v_pack_b32_f16 v48, v141, v143
	;; [unrolled: 1-line block ×4, first 2 shown]
	ds_store_b32 v52, v121 offset:3588
	ds_store_b32 v52, v46 offset:936
	ds_store_2addr_b32 v123, v48, v47 offset0:123 offset1:240
	ds_store_b32 v52, v41 offset:4056
	s_and_saveexec_b32 s1, vcc_lo
	s_cbranch_execz .LBB0_13
; %bb.12:
	v_add_f16_e32 v41, v127, v43
	v_add_f16_e32 v43, v126, v44
	s_delay_alu instid0(VALU_DEP_2) | instskip(NEXT) | instid1(VALU_DEP_2)
	v_add_f16_e32 v41, v41, v42
	v_add_f16_e32 v42, v43, v45
	v_perm_b32 v43, v122, v40, 0x5040100
	s_delay_alu instid0(VALU_DEP_2)
	v_pack_b32_f16 v41, v42, v41
	v_perm_b32 v42, v125, v39, 0x5040100
	ds_store_b32 v52, v41 offset:1404
	ds_store_b32 v52, v42 offset:2964
	;; [unrolled: 1-line block ×3, first 2 shown]
.LBB0_13:
	s_wait_alu 0xfffe
	s_or_b32 exec_lo, exec_lo, s1
	global_wb scope:SCOPE_SE
	s_wait_dscnt 0x0
	s_barrier_signal -1
	s_barrier_wait -1
	global_inv scope:SCOPE_SE
	global_load_b32 v41, v[37:38], off offset:4680
	v_lshlrev_b32_e32 v37, 2, v63
	s_add_nc_u64 s[2:3], s[8:9], 0x1248
	s_clause 0x8
	global_load_b32 v121, v37, s[2:3] offset:468
	global_load_b32 v130, v37, s[2:3] offset:2340
	;; [unrolled: 1-line block ×9, first 2 shown]
	ds_load_2addr_b32 v[37:38], v52 offset1:117
	v_add_nc_u32_e32 v138, 0x600, v52
	v_add_nc_u32_e32 v123, 0xa00, v52
	;; [unrolled: 1-line block ×7, first 2 shown]
	s_wait_dscnt 0x0
	v_lshrrev_b32_e32 v42, 16, v37
	s_wait_loadcnt 0x8
	v_lshrrev_b32_e32 v47, 16, v121
	s_wait_loadcnt 0x7
	v_lshrrev_b32_e32 v140, 16, v130
	v_lshrrev_b32_e32 v43, 16, v41
	s_wait_loadcnt 0x6
	v_lshrrev_b32_e32 v141, 16, v131
	s_wait_loadcnt 0x5
	v_lshrrev_b32_e32 v144, 16, v132
	v_mul_f16_e64 v143, v38, v47
	s_wait_loadcnt 0x4
	v_lshrrev_b32_e32 v145, 16, v133
	v_mul_f16_e32 v44, v42, v43
	v_mul_f16_e32 v43, v37, v43
	s_wait_loadcnt 0x0
	v_lshrrev_b32_e32 v146, 16, v137
	s_delay_alu instid0(VALU_DEP_3) | instskip(NEXT) | instid1(VALU_DEP_3)
	v_fma_f16 v37, v37, v41, -v44
	v_fmac_f16_e32 v43, v42, v41
	s_delay_alu instid0(VALU_DEP_1)
	v_pack_b32_f16 v37, v37, v43
	ds_store_b32 v52, v37
	v_lshrrev_b32_e32 v37, 16, v38
	ds_load_2addr_b32 v[41:42], v138 offset0:84 offset1:201
	ds_load_2addr_b32 v[43:44], v123 offset0:62 offset1:179
	;; [unrolled: 1-line block ×3, first 2 shown]
	v_mul_f16_e64 v142, v37, v47
	ds_load_2addr_b32 v[47:48], v139 offset0:40 offset1:157
	v_fmac_f16_e64 v143, v37, v121
	v_lshrrev_b32_e32 v37, 16, v134
	v_fma_f16 v38, v38, v121, -v142
	v_lshrrev_b32_e32 v121, 16, v135
	v_lshrrev_b32_e32 v142, 16, v136
	s_delay_alu instid0(VALU_DEP_3)
	v_pack_b32_f16 v38, v38, v143
	s_wait_dscnt 0x3
	v_lshrrev_b32_e32 v143, 16, v42
	s_wait_dscnt 0x2
	v_lshrrev_b32_e32 v148, 16, v43
	v_mul_f16_e64 v147, v42, v140
	s_wait_dscnt 0x1
	v_lshrrev_b32_e32 v150, 16, v45
	v_lshrrev_b32_e32 v152, 16, v44
	;; [unrolled: 1-line block ×3, first 2 shown]
	s_wait_dscnt 0x0
	v_lshrrev_b32_e32 v156, 16, v47
	v_lshrrev_b32_e32 v158, 16, v41
	;; [unrolled: 1-line block ×3, first 2 shown]
	v_mul_f16_e64 v149, v43, v141
	v_mul_f16_e64 v140, v143, v140
	;; [unrolled: 1-line block ×4, first 2 shown]
	v_fmac_f16_e64 v147, v143, v130
	v_mul_f16_e64 v143, v150, v144
	v_mul_f16_e64 v153, v44, v145
	;; [unrolled: 1-line block ×11, first 2 shown]
	v_fmac_f16_e64 v149, v148, v131
	v_fma_f16 v42, v42, v130, -v140
	v_fma_f16 v43, v43, v131, -v141
	v_fmac_f16_e64 v151, v150, v132
	v_fma_f16 v45, v45, v132, -v143
	v_fmac_f16_e64 v153, v152, v133
	v_fmac_f16_e64 v157, v156, v135
	v_fma_f16 v44, v44, v133, -v144
	v_fma_f16 v37, v46, v134, -v37
	;; [unrolled: 1-line block ×3, first 2 shown]
	v_fmac_f16_e64 v155, v154, v134
	v_fmac_f16_e64 v159, v158, v136
	v_fma_f16 v41, v41, v136, -v142
	v_fmac_f16_e64 v161, v160, v137
	v_fma_f16 v47, v48, v137, -v145
	v_pack_b32_f16 v42, v42, v147
	v_pack_b32_f16 v43, v43, v149
	;; [unrolled: 1-line block ×8, first 2 shown]
	ds_store_2addr_b32 v127, v42, v43 offset0:73 offset1:190
	ds_store_2addr_b32 v52, v38, v45 offset0:117 offset1:234
	;; [unrolled: 1-line block ×4, first 2 shown]
	ds_store_b32 v52, v47 offset:4212
	global_wb scope:SCOPE_SE
	s_wait_dscnt 0x0
	s_barrier_signal -1
	s_barrier_wait -1
	global_inv scope:SCOPE_SE
	ds_load_2addr_b32 v[130:131], v52 offset1:117
	ds_load_2addr_b32 v[41:42], v138 offset0:84 offset1:201
	ds_load_2addr_b32 v[43:44], v123 offset0:62 offset1:179
	;; [unrolled: 1-line block ×4, first 2 shown]
	global_wb scope:SCOPE_SE
	s_wait_dscnt 0x0
	s_barrier_signal -1
	s_barrier_wait -1
	global_inv scope:SCOPE_SE
	v_pk_add_f16 v38, v130, v42 neg_lo:[0,1] neg_hi:[0,1]
	v_pk_add_f16 v48, v131, v43 neg_lo:[0,1] neg_hi:[0,1]
	;; [unrolled: 1-line block ×5, first 2 shown]
	v_pk_fma_f16 v37, v130, 2.0, v38 op_sel_hi:[1,0,1] neg_lo:[0,0,1] neg_hi:[0,0,1]
	v_pk_fma_f16 v47, v131, 2.0, v48 op_sel_hi:[1,0,1] neg_lo:[0,0,1] neg_hi:[0,0,1]
	;; [unrolled: 1-line block ×5, first 2 shown]
	v_lshrrev_b32_e32 v121, 16, v37
	ds_store_b64 v76, v[37:38]
	v_lshrrev_b32_e32 v132, 16, v47
	v_lshrrev_b32_e32 v131, 16, v45
	;; [unrolled: 1-line block ×4, first 2 shown]
	ds_store_b64 v75, v[47:48]
	ds_store_b64 v74, v[45:46]
	ds_store_b64 v73, v[43:44]
	ds_store_b64 v124, v[41:42]
	global_wb scope:SCOPE_SE
	s_wait_dscnt 0x0
	s_barrier_signal -1
	s_barrier_wait -1
	global_inv scope:SCOPE_SE
	s_and_saveexec_b32 s1, s0
	s_cbranch_execz .LBB0_15
; %bb.14:
	ds_load_2addr_b32 v[37:38], v52 offset1:90
	ds_load_2addr_b32 v[47:48], v128 offset0:52 offset1:142
	ds_load_2addr_b32 v[45:46], v129 offset0:104 offset1:194
	ds_load_2addr_b32 v[43:44], v127 offset0:28 offset1:118
	ds_load_2addr_b32 v[41:42], v123 offset0:80 offset1:170
	ds_load_2addr_b32 v[39:40], v126 offset0:132 offset1:222
	ds_load_b32 v105, v52 offset:4320
	s_wait_dscnt 0x6
	v_lshrrev_b32_e32 v121, 16, v37
	s_wait_dscnt 0x5
	v_lshrrev_b32_e32 v132, 16, v47
	;; [unrolled: 2-line block ×6, first 2 shown]
	v_lshrrev_b32_e32 v122, 16, v40
	s_wait_dscnt 0x0
	v_lshrrev_b32_e32 v106, 16, v105
.LBB0_15:
	s_wait_alu 0xfffe
	s_or_b32 exec_lo, exec_lo, s1
	v_lshrrev_b32_e32 v73, 16, v38
	v_mul_f16_e32 v74, v87, v38
	v_mul_f16_e64 v75, v88, v132
	v_mul_f16_e32 v88, v88, v47
	v_lshrrev_b32_e32 v123, 16, v48
	v_mul_f16_e32 v87, v87, v73
	v_fma_f16 v73, v8, v73, -v74
	v_fmac_f16_e32 v75, v9, v47
	v_fma_f16 v47, v9, v132, -v88
	v_mul_f16_e32 v74, v86, v123
	v_fmac_f16_e32 v87, v8, v38
	v_mul_f16_e32 v8, v86, v48
	v_mul_f16_e64 v38, v85, v131
	v_mul_f16_e32 v9, v85, v45
	v_lshrrev_b32_e32 v85, 16, v46
	v_fmac_f16_e32 v74, v10, v48
	v_fma_f16 v48, v10, v123, -v8
	v_fmac_f16_e32 v38, v11, v45
	v_fma_f16 v10, v11, v131, -v9
	v_mul_f16_e32 v11, v84, v85
	v_mul_f16_e32 v8, v84, v46
	;; [unrolled: 1-line block ×4, first 2 shown]
	v_lshrrev_b32_e32 v83, 16, v44
	v_fmac_f16_e32 v11, v4, v46
	v_fma_f16 v46, v4, v85, -v8
	v_fmac_f16_e32 v45, v5, v43
	v_fma_f16 v43, v5, v76, -v9
	v_mul_f16_e32 v76, v82, v83
	v_lshrrev_b32_e32 v8, 16, v42
	v_mul_f16_e32 v4, v82, v44
	v_mul_f16_e64 v82, v81, v130
	v_mul_f16_e32 v5, v81, v41
	v_fmac_f16_e32 v76, v6, v44
	v_mul_f16_e32 v44, v79, v8
	v_fma_f16 v81, v6, v83, -v4
	v_mul_f16_e32 v4, v80, v105
	v_mul_f16_e32 v9, v79, v42
	;; [unrolled: 1-line block ×3, first 2 shown]
	v_fmac_f16_e32 v44, v0, v42
	v_fmac_f16_e32 v82, v7, v41
	v_fma_f16 v4, v3, v106, -v4
	v_fma_f16 v0, v0, v8, -v9
	v_fmac_f16_e32 v6, v3, v105
	v_mul_f16_e32 v3, v77, v122
	v_mul_f16_e32 v8, v77, v40
	v_fma_f16 v5, v7, v130, -v5
	v_mul_f16_e32 v7, v78, v125
	v_mul_f16_e32 v41, v78, v39
	v_sub_f16_e32 v85, v73, v4
	v_add_f16_e32 v124, v4, v73
	v_fmac_f16_e32 v3, v2, v40
	v_fma_f16 v2, v2, v122, -v8
	v_fmac_f16_e32 v7, v1, v39
	v_fma_f16 v1, v1, v125, -v41
	v_add_f16_e32 v39, v6, v87
	v_mul_f16_e32 v126, 0xba95, v85
	v_sub_f16_e32 v41, v87, v6
	v_mul_f16_e64 v130, 0x388b, v124
	v_sub_f16_e32 v105, v47, v2
	v_add_f16_e64 v129, v2, v47
	v_fma_f16 v9, v39, 0x388b, -v126
	v_mul_f16_e64 v134, 0xbbf1, v85
	v_mul_f16_e64 v140, 0x2fb7, v124
	v_fma_f16 v8, 0xba95, v41, v130
	v_mul_f16_e64 v145, 0xbb7b, v85
	v_add_f16_e32 v78, v3, v75
	v_mul_f16_e64 v131, 0xbb7b, v105
	v_sub_f16_e32 v80, v75, v3
	v_mul_f16_e64 v135, 0xb5ac, v129
	v_add_f16_e32 v9, v37, v9
	v_fma_f16 v40, v39, 0x2fb7, -v134
	v_fma_f16 v42, 0xbbf1, v41, v140
	v_add_f16_e32 v8, v121, v8
	v_mul_f16_e64 v152, 0xb5ac, v124
	v_fma_f16 v77, v39, 0xb5ac, -v145
	v_mul_f16_e64 v143, 0xb3a8, v105
	v_fma_f16 v83, v78, 0xb5ac, -v131
	v_mul_f16_e64 v146, 0xbbc4, v129
	v_mul_f16_e64 v153, 0x394e, v105
	v_fma_f16 v84, 0xbb7b, v80, v135
	v_add_f16_e64 v133, v1, v48
	v_add_f16_e32 v40, v37, v40
	v_add_f16_e32 v42, v121, v42
	v_fma_f16 v79, 0xbb7b, v41, v152
	v_add_f16_e32 v77, v37, v77
	v_fma_f16 v86, v78, 0xbbc4, -v143
	v_add_f16_e32 v9, v83, v9
	v_fma_f16 v83, 0xb3a8, v80, v146
	v_fma_f16 v88, v78, 0xb9fd, -v153
	v_add_f16_e32 v8, v84, v8
	v_mul_f16_e64 v159, 0xb9fd, v129
	v_sub_f16_e32 v123, v48, v1
	v_sub_f16_e32 v84, v74, v7
	v_mul_f16_e64 v141, 0xbbc4, v133
	v_add_f16_e32 v79, v121, v79
	v_add_f16_e32 v40, v86, v40
	;; [unrolled: 1-line block ×4, first 2 shown]
	v_fma_f16 v86, 0x394e, v80, v159
	v_add_f16_e32 v83, v7, v74
	v_mul_f16_e64 v136, 0xb3a8, v123
	v_mul_f16_e64 v151, 0xb5ac, v133
	v_fma_f16 v88, 0xb3a8, v84, v141
	v_add_f16_e64 v139, v0, v10
	v_mul_f16_e64 v149, 0x3b7b, v123
	v_add_f16_e32 v79, v86, v79
	v_fma_f16 v86, v83, 0xbbc4, -v136
	v_mul_f16_e64 v156, 0x3770, v123
	v_fma_f16 v122, 0x3b7b, v84, v151
	v_add_f16_e32 v8, v88, v8
	v_sub_f16_e32 v88, v38, v44
	v_mul_f16_e64 v158, 0x3b15, v139
	v_fma_f16 v106, v83, 0xb5ac, -v149
	v_add_f16_e32 v9, v86, v9
	v_fma_f16 v86, v83, 0x3b15, -v156
	v_add_f16_e32 v42, v122, v42
	v_mul_f16_e64 v162, 0x3b15, v133
	v_sub_f16_e32 v127, v10, v0
	v_fma_f16 v132, 0x3770, v88, v158
	v_add_f16_e32 v40, v106, v40
	v_add_f16_e32 v77, v86, v77
	;; [unrolled: 1-line block ×3, first 2 shown]
	v_mul_f16_e64 v144, 0x394e, v127
	v_mul_f16_e64 v147, 0xb9fd, v139
	v_fma_f16 v106, 0x3770, v84, v162
	v_add_f16_e64 v42, v132, v42
	v_sub_f16_e64 v132, v46, v5
	v_mul_f16_e64 v154, 0x3770, v127
	v_fma_f16 v122, v86, 0xb9fd, -v144
	v_fma_f16 v125, 0x394e, v88, v147
	v_add_f16_e32 v79, v106, v79
	v_mul_f16_e64 v161, 0xbbf1, v127
	v_add_f16_e64 v138, v5, v46
	v_add_f16_e32 v106, v82, v11
	v_mul_f16_e64 v148, 0x3bf1, v132
	v_fma_f16 v128, v86, 0x3b15, -v154
	v_add_f16_e32 v9, v122, v9
	v_add_f16_e32 v8, v125, v8
	v_mul_f16_e64 v167, 0x2fb7, v139
	v_sub_f16_e32 v122, v11, v82
	v_mul_f16_e64 v150, 0x2fb7, v138
	v_fma_f16 v125, v86, 0x2fb7, -v161
	v_mul_f16_e64 v160, 0xba95, v132
	v_fma_f16 v137, v106, 0x2fb7, -v148
	v_add_f16_e64 v40, v128, v40
	v_fma_f16 v128, 0xbbf1, v88, v167
	v_fma_f16 v142, 0x3bf1, v122, v150
	v_add_f16_e32 v77, v125, v77
	v_fma_f16 v125, v106, 0x388b, -v160
	v_add_f16_e64 v9, v137, v9
	v_mul_f16_e64 v163, 0x388b, v138
	v_sub_f16_e64 v137, v43, v81
	v_mul_f16_e64 v166, 0x33a8, v132
	v_mul_f16_e64 v169, 0xbbc4, v138
	v_add_f16_e64 v79, v128, v79
	v_add_f16_e64 v8, v142, v8
	v_add_f16_e64 v171, v125, v40
	v_fma_f16 v40, 0xba95, v122, v163
	v_add_f16_e32 v125, v76, v45
	v_mul_f16_e64 v155, 0x3770, v137
	v_fma_f16 v128, v106, 0xbbc4, -v166
	v_fma_f16 v157, 0x33a8, v122, v169
	v_add_f16_e64 v142, v81, v43
	v_add_f16_e64 v172, v40, v42
	v_fma_f16 v40, v125, 0x3b15, -v155
	v_add_f16_e64 v173, v128, v77
	v_add_f16_e64 v174, v157, v79
	v_sub_f16_e64 v128, v45, v76
	v_mul_f16_e64 v157, 0x3b15, v142
	v_mul_f16_e64 v164, 0xb94e, v137
	v_mul_f16_e64 v165, 0xb9fd, v142
	v_mul_f16_e64 v168, 0x3a95, v137
	v_mul_f16_e64 v170, 0x388b, v142
	v_add_f16_e32 v40, v40, v9
	v_fma_f16 v9, 0x3770, v128, v157
	v_fma_f16 v77, v125, 0xb9fd, -v164
	v_fma_f16 v175, 0xb94e, v128, v165
	v_fma_f16 v176, v125, 0x388b, -v168
	v_fma_f16 v177, 0x3a95, v128, v170
	v_add_f16_e32 v42, v9, v8
	v_add_f16_e64 v79, v77, v171
	v_add_f16_e64 v77, v175, v172
	;; [unrolled: 1-line block ×4, first 2 shown]
	global_wb scope:SCOPE_SE
	s_barrier_signal -1
	s_barrier_wait -1
	global_inv scope:SCOPE_SE
	s_and_saveexec_b32 s1, s0
	s_cbranch_execz .LBB0_17
; %bb.16:
	v_mul_f16_e64 v197, 0xb94e, v41
	v_mul_f16_e64 v203, 0x3bf1, v80
	;; [unrolled: 1-line block ×5, first 2 shown]
	v_fma_f16 v202, 0xb9fd, v124, v197
	v_fma_f16 v207, 0x2fb7, v129, v203
	v_mul_f16_e64 v173, 0x2fb7, v39
	v_fma_f16 v214, v39, 0xb9fd, -v211
	v_mul_f16_e64 v215, 0x3bf1, v105
	v_add_f16_e64 v202, v121, v202
	v_mul_f16_e64 v216, 0x3770, v122
	v_mul_f16_e64 v171, 0x388b, v39
	;; [unrolled: 1-line block ×4, first 2 shown]
	v_add_f16_e64 v202, v207, v202
	v_fma_f16 v207, 0x388b, v133, v208
	v_add_f16_e64 v134, v173, v134
	v_add_f16_e64 v214, v37, v214
	v_fma_f16 v217, v78, 0x2fb7, -v215
	v_mul_f16_e64 v218, 0xba95, v123
	v_add_f16_e64 v202, v207, v202
	v_fma_f16 v207, 0xbbc4, v139, v212
	v_mul_f16_e64 v219, 0xbb7b, v128
	v_add_f16_e32 v87, v37, v87
	v_mul_f16_e64 v177, 0xb5ac, v78
	v_mul_f16_e64 v178, 0xbb7b, v80
	v_add_f16_e64 v202, v207, v202
	v_fma_f16 v207, 0x3b15, v138, v216
	v_mul_f16_e64 v185, 0xb5ac, v83
	v_add_f16_e64 v134, v37, v134
	v_add_f16_e64 v143, v179, v143
	v_sub_f16_e64 v130, v130, v172
	v_add_f16_e64 v126, v171, v126
	v_add_f16_e64 v214, v217, v214
	v_fma_f16 v217, v83, 0x388b, -v218
	v_mul_f16_e64 v220, 0x33a8, v127
	v_add_f16_e64 v202, v207, v202
	v_fma_f16 v207, 0xb5ac, v142, v219
	v_mul_f16_e64 v221, 0xb3a8, v41
	v_add_f16_e32 v75, v75, v87
	v_mul_f16_e64 v183, 0xbbc4, v83
	v_mul_f16_e64 v184, 0xb3a8, v84
	;; [unrolled: 1-line block ×3, first 2 shown]
	v_add_f16_e64 v134, v143, v134
	v_add_f16_e64 v143, v185, v149
	;; [unrolled: 1-line block ×3, first 2 shown]
	v_sub_f16_e64 v135, v135, v178
	v_add_f16_e32 v126, v37, v126
	v_add_f16_e64 v131, v177, v131
	v_add_f16_e32 v73, v73, v121
	v_add_f16_e64 v214, v217, v214
	v_fma_f16 v217, v86, 0xbbc4, -v220
	v_mul_f16_e64 v222, 0x3770, v132
	v_add_f16_e64 v202, v207, v202
	v_fma_f16 v207, 0xbbc4, v124, v221
	v_mul_f16_e64 v223, 0x3770, v80
	v_add_f16_e32 v74, v74, v75
	v_mul_f16_e64 v189, 0xb9fd, v86
	v_mul_f16_e64 v190, 0x394e, v88
	;; [unrolled: 1-line block ×3, first 2 shown]
	v_add_f16_e64 v134, v143, v134
	v_add_f16_e64 v143, v191, v154
	v_add_f16_e64 v130, v135, v130
	v_sub_f16_e64 v135, v141, v184
	v_add_f16_e64 v126, v131, v126
	v_add_f16_e64 v131, v183, v136
	v_add_f16_e32 v47, v47, v73
	v_add_f16_e64 v214, v217, v214
	v_fma_f16 v217, v106, 0x3b15, -v222
	v_mul_f16_e64 v224, 0xbb7b, v137
	v_add_f16_e64 v207, v121, v207
	v_fma_f16 v225, 0x3b15, v129, v223
	v_mul_f16_e64 v226, 0xb94e, v84
	v_add_f16_e32 v38, v38, v74
	v_mul_f16_e64 v195, 0x2fb7, v106
	v_mul_f16_e64 v206, 0xb9fd, v125
	v_fma_f16 v221, v124, 0xbbc4, -v221
	v_fma_f16 v197, v124, 0xb9fd, -v197
	v_add_f16_e64 v134, v143, v134
	v_add_f16_e64 v143, v198, v160
	;; [unrolled: 1-line block ×3, first 2 shown]
	v_sub_f16_e64 v135, v147, v190
	v_mul_f16_e32 v124, 0x3b15, v124
	v_add_f16_e64 v126, v131, v126
	v_add_f16_e64 v131, v189, v144
	v_add_f16_e32 v47, v48, v47
	v_add_f16_e64 v214, v217, v214
	v_fma_f16 v217, v125, 0xb5ac, -v224
	v_mul_f16_e64 v227, 0xb3a8, v85
	v_add_f16_e64 v207, v225, v207
	v_fma_f16 v225, 0xb9fd, v133, v226
	v_mul_f16_e64 v228, 0x3a95, v88
	v_add_f16_e32 v11, v11, v38
	v_mul_f16_e64 v196, 0x3bf1, v122
	v_mul_f16_e64 v204, 0x3b15, v125
	v_add_f16_e64 v221, v121, v221
	v_fma_f16 v223, v129, 0x3b15, -v223
	v_add_f16_e64 v197, v121, v197
	v_fma_f16 v203, v129, 0x2fb7, -v203
	v_add_f16_e64 v134, v143, v134
	v_add_f16_e64 v141, v206, v164
	;; [unrolled: 1-line block ×3, first 2 shown]
	v_fma_f16 v135, 0x3770, v41, v124
	v_mul_f16_e64 v129, 0x388b, v129
	v_add_f16_e64 v126, v131, v126
	v_add_f16_e64 v131, v195, v148
	v_add_f16_e32 v10, v10, v47
	v_add_f16_e64 v214, v217, v214
	v_fma_f16 v217, v39, 0xbbc4, -v227
	v_mul_f16_e64 v229, 0x3770, v105
	v_add_f16_e64 v207, v225, v207
	v_fma_f16 v225, 0x388b, v139, v228
	v_mul_f16_e64 v230, 0xbb7b, v122
	v_add_f16_e32 v11, v45, v11
	v_add_f16_e64 v221, v223, v221
	v_fma_f16 v223, v133, 0xb9fd, -v226
	v_add_f16_e64 v197, v203, v197
	v_fma_f16 v203, v133, 0x388b, -v208
	v_add_f16_e64 v134, v141, v134
	v_sub_f16_e64 v136, v150, v196
	v_add_f16_e64 v135, v121, v135
	v_fma_f16 v141, 0x3a95, v80, v129
	v_mul_f16_e64 v133, 0x2fb7, v133
	v_add_f16_e64 v126, v131, v126
	v_add_f16_e64 v131, v204, v155
	v_mul_f16_e32 v85, 0xb770, v85
	v_add_f16_e32 v10, v46, v10
	v_mul_f16_e64 v174, 0xbbf1, v41
	v_add_f16_e64 v217, v37, v217
	v_fma_f16 v231, v78, 0x3b15, -v229
	v_mul_f16_e64 v232, 0xb94e, v123
	v_add_f16_e64 v207, v225, v207
	v_fma_f16 v225, 0xb5ac, v138, v230
	v_mul_f16_e64 v233, 0x3bf1, v128
	v_add_f16_e32 v11, v76, v11
	v_mul_f16_e64 v175, 0xb5ac, v39
	v_mul_f16_e64 v176, 0xbb7b, v41
	v_add_f16_e64 v221, v223, v221
	v_fma_f16 v223, v139, 0x388b, -v228
	v_add_f16_e64 v197, v203, v197
	v_fma_f16 v203, v139, 0xbbc4, -v212
	v_add_f16_e64 v130, v136, v130
	v_add_f16_e64 v135, v141, v135
	v_fma_f16 v136, 0x3bf1, v84, v133
	v_mul_f16_e64 v139, 0xb5ac, v139
	v_add_f16_e64 v126, v131, v126
	v_fma_f16 v131, 0x3b15, v39, v85
	v_mul_f16_e32 v105, 0xba95, v105
	v_add_f16_e32 v10, v43, v10
	v_mul_f16_e64 v180, 0xb3a8, v80
	v_add_f16_e64 v217, v231, v217
	v_fma_f16 v231, v83, 0xb9fd, -v232
	v_mul_f16_e64 v234, 0x3a95, v127
	v_add_f16_e64 v207, v225, v207
	v_fma_f16 v225, 0x2fb7, v142, v233
	v_sub_f16_e64 v140, v140, v174
	v_add_f16_e32 v11, v82, v11
	v_mul_f16_e64 v181, 0xb9fd, v78
	v_mul_f16_e64 v182, 0x394e, v80
	v_fmac_f16_e64 v211, 0xb9fd, v39
	v_sub_f16_e64 v152, v152, v176
	v_add_f16_e64 v145, v175, v145
	v_add_f16_e64 v135, v136, v135
	v_fma_f16 v136, 0x3b7b, v88, v139
	v_add_f16_e64 v87, v37, v131
	v_fma_f16 v131, 0x388b, v78, v105
	v_mul_f16_e32 v123, 0xbbf1, v123
	v_add_f16_e32 v10, v81, v10
	v_mul_f16_e64 v186, 0x3b7b, v84
	v_add_f16_e64 v217, v231, v217
	v_fma_f16 v231, v86, 0x388b, -v234
	v_add_f16_e64 v207, v225, v207
	v_mul_f16_e64 v225, 0xbb7b, v132
	v_fmac_f16_e64 v227, 0xbbc4, v39
	v_add_f16_e64 v140, v121, v140
	v_sub_f16_e64 v146, v146, v180
	v_fmac_f16_e32 v124, 0xb770, v41
	v_add_f16_e32 v11, v44, v11
	v_fma_f16 v39, v39, 0x3b15, -v85
	v_mul_f16_e64 v187, 0x3b15, v83
	v_mul_f16_e64 v188, 0x3770, v84
	v_add_f16_e64 v211, v37, v211
	v_fmac_f16_e64 v215, 0x2fb7, v78
	v_add_f16_e64 v152, v121, v152
	v_sub_f16_e64 v159, v159, v182
	v_add_f16_e64 v145, v37, v145
	v_add_f16_e64 v153, v181, v153
	;; [unrolled: 1-line block ×3, first 2 shown]
	v_mul_f16_e64 v136, 0xb9fd, v138
	v_add_f16_e64 v73, v131, v87
	v_fmamk_f16 v87, v83, 0x2fb7, v123
	v_mul_f16_e32 v74, 0xbb7b, v127
	v_add_f16_e32 v5, v5, v10
	v_mul_f16_e64 v192, 0x3770, v88
	v_add_f16_e64 v217, v231, v217
	v_fma_f16 v226, v106, 0xb5ac, -v225
	v_mul_f16_e64 v231, 0x3bf1, v137
	v_add_f16_e64 v227, v37, v227
	v_fmac_f16_e64 v229, 0x3b15, v78
	v_add_f16_e64 v140, v146, v140
	v_sub_f16_e64 v146, v151, v186
	v_add_f16_e32 v10, v121, v124
	v_fmac_f16_e64 v129, 0xba95, v80
	v_add_f16_e32 v7, v7, v11
	v_add_f16_e32 v11, v37, v39
	v_fma_f16 v37, v78, 0x388b, -v105
	v_mul_f16_e64 v193, 0x2fb7, v86
	v_mul_f16_e64 v194, 0xbbf1, v88
	v_add_f16_e64 v176, v215, v211
	v_fmac_f16_e64 v218, 0x388b, v83
	v_add_f16_e64 v152, v159, v152
	v_sub_f16_e64 v159, v162, v188
	v_add_f16_e64 v145, v153, v145
	v_add_f16_e64 v153, v187, v156
	v_fma_f16 v75, 0x394e, v122, v136
	v_add_f16_e32 v73, v87, v73
	v_fmamk_f16 v38, v86, 0xb5ac, v74
	v_mul_f16_e64 v47, 0xb94e, v132
	v_add_f16_e32 v0, v0, v5
	v_mul_f16_e64 v199, 0xba95, v122
	v_add_f16_e64 v217, v226, v217
	v_fma_f16 v226, v125, 0x2fb7, -v231
	v_add_f16_e64 v227, v229, v227
	v_fmac_f16_e64 v232, 0xb9fd, v83
	v_add_f16_e64 v140, v146, v140
	v_sub_f16_e64 v146, v158, v192
	v_add_f16_e64 v5, v129, v10
	v_fmac_f16_e64 v133, 0xbbf1, v84
	v_add_f16_e32 v3, v3, v7
	v_add_f16_e32 v7, v37, v11
	v_fma_f16 v10, v83, 0x2fb7, -v123
	v_mul_f16_e64 v200, 0xbbc4, v106
	v_mul_f16_e64 v201, 0x33a8, v122
	v_add_f16_e64 v176, v218, v176
	v_fmac_f16_e64 v220, 0xbbc4, v86
	v_add_f16_e64 v152, v159, v152
	v_sub_f16_e64 v159, v167, v194
	v_add_f16_e64 v145, v153, v145
	v_add_f16_e64 v153, v193, v161
	;; [unrolled: 1-line block ×3, first 2 shown]
	v_mul_f16_e64 v75, 0xbbc4, v142
	v_add_f16_e32 v38, v38, v73
	v_fmamk_f16 v45, v106, 0xb9fd, v47
	v_mul_f16_e64 v46, 0xb3a8, v137
	v_add_f16_e32 v0, v1, v0
	v_mul_f16_e64 v205, 0x3770, v128
	v_mul_f16_e64 v209, 0xb94e, v128
	v_add_f16_e64 v217, v226, v217
	v_add_f16_e64 v226, v232, v227
	v_fmac_f16_e64 v234, 0x388b, v86
	v_add_f16_e64 v140, v146, v140
	v_sub_f16_e64 v146, v163, v199
	v_add_f16_e64 v1, v133, v5
	v_fmac_f16_e64 v139, 0xbb7b, v88
	v_add_f16_e32 v3, v6, v3
	v_add_f16_e32 v5, v10, v7
	v_fma_f16 v6, v86, 0xb5ac, -v74
	v_mul_f16_e64 v210, 0x388b, v125
	v_mul_f16_e64 v213, 0x3a95, v128
	v_add_f16_e64 v197, v203, v197
	v_fma_f16 v203, v138, 0x3b15, -v216
	v_add_f16_e64 v162, v220, v176
	v_fmac_f16_e64 v222, 0x3b15, v106
	v_add_f16_e64 v152, v159, v152
	v_sub_f16_e64 v159, v169, v201
	v_add_f16_e64 v145, v153, v145
	v_add_f16_e64 v151, v200, v166
	v_fma_f16 v73, 0x33a8, v128, v75
	v_add_f16_e32 v38, v45, v38
	v_fmamk_f16 v43, v125, 0xbbc4, v46
	v_add_f16_e32 v0, v2, v0
	v_mul_u32_u24_e32 v2, 26, v72
	v_add_f16_e64 v221, v223, v221
	v_fma_f16 v223, v138, 0xb5ac, -v230
	v_add_f16_e64 v226, v234, v226
	v_fmac_f16_e64 v225, 0xb5ac, v106
	v_add_f16_e64 v140, v146, v140
	v_sub_f16_e64 v146, v165, v209
	v_sub_f16_e64 v141, v157, v205
	v_add_f16_e64 v1, v139, v1
	v_fmac_f16_e64 v136, 0xb94e, v122
	v_add_f16_e32 v5, v6, v5
	v_fma_f16 v6, v106, 0xb9fd, -v47
	v_add_f16_e64 v182, v203, v197
	v_fma_f16 v197, v142, 0xb5ac, -v219
	v_add_f16_e64 v162, v222, v162
	v_fmac_f16_e64 v224, 0xb5ac, v125
	v_add_f16_e64 v152, v159, v152
	v_sub_f16_e64 v159, v170, v213
	v_add_f16_e64 v145, v151, v145
	v_add_f16_e64 v149, v210, v168
	v_add_f16_e32 v45, v73, v48
	v_add_f16_e32 v38, v43, v38
	;; [unrolled: 1-line block ×3, first 2 shown]
	v_or_b32_e32 v2, v2, v71
	v_add_f16_e64 v221, v223, v221
	v_fma_f16 v223, v142, 0x2fb7, -v233
	v_add_f16_e64 v208, v225, v226
	v_fmac_f16_e64 v231, 0x2fb7, v125
	v_add_f16_e64 v140, v146, v140
	v_add_f16_e64 v130, v141, v130
	;; [unrolled: 1-line block ×3, first 2 shown]
	v_fmac_f16_e64 v75, 0xb3a8, v128
	v_add_f16_e32 v4, v6, v5
	v_fma_f16 v5, v125, 0xbbc4, -v46
	v_add_f16_e64 v175, v197, v182
	v_add_f16_e64 v156, v224, v162
	;; [unrolled: 1-line block ×3, first 2 shown]
	v_lshlrev_b32_e32 v2, 2, v2
	v_pack_b32_f16 v0, v3, v0
	v_pack_b32_f16 v3, v38, v45
	v_add_f16_e64 v10, v149, v145
	v_add_f16_e64 v221, v223, v221
	;; [unrolled: 1-line block ×3, first 2 shown]
	v_pack_b32_f16 v6, v126, v130
	v_pack_b32_f16 v7, v134, v140
	v_add_f16_e32 v1, v75, v1
	v_add_f16_e32 v4, v5, v4
	ds_store_2addr_b32 v2, v0, v3 offset1:2
	ds_store_2addr_b32 v2, v6, v7 offset0:4 offset1:6
	v_pack_b32_f16 v0, v10, v152
	v_pack_b32_f16 v3, v156, v175
	;; [unrolled: 1-line block ×5, first 2 shown]
	v_perm_b32 v10, v9, v8, 0x5040100
	v_perm_b32 v11, v77, v79, 0x5040100
	;; [unrolled: 1-line block ×3, first 2 shown]
	v_pack_b32_f16 v1, v4, v1
	ds_store_2addr_b32 v2, v0, v3 offset0:8 offset1:10
	ds_store_2addr_b32 v2, v5, v6 offset0:12 offset1:14
	;; [unrolled: 1-line block ×4, first 2 shown]
	ds_store_b32 v2, v1 offset:96
.LBB0_17:
	s_wait_alu 0xfffe
	s_or_b32 exec_lo, exec_lo, s1
	v_add_nc_u32_e32 v0, 0x300, v52
	v_add_nc_u32_e32 v4, 0xc00, v52
	;; [unrolled: 1-line block ×3, first 2 shown]
	global_wb scope:SCOPE_SE
	s_wait_dscnt 0x0
	s_barrier_signal -1
	s_barrier_wait -1
	global_inv scope:SCOPE_SE
	ds_load_2addr_b32 v[2:3], v52 offset1:117
	ds_load_2addr_b32 v[0:1], v0 offset0:42 offset1:198
	ds_load_2addr_b32 v[6:7], v4 offset0:12 offset1:129
	;; [unrolled: 1-line block ×3, first 2 shown]
	ds_load_b32 v10, v52 offset:4056
	s_and_saveexec_b32 s0, vcc_lo
	s_cbranch_execz .LBB0_19
; %bb.18:
	ds_load_b32 v8, v52 offset:1404
	ds_load_b32 v79, v52 offset:2964
	;; [unrolled: 1-line block ×3, first 2 shown]
	s_wait_dscnt 0x2
	v_lshrrev_b32_e32 v9, 16, v8
	s_wait_dscnt 0x1
	v_lshrrev_b32_e32 v77, 16, v79
	;; [unrolled: 2-line block ×3, first 2 shown]
.LBB0_19:
	s_wait_alu 0xfffe
	s_or_b32 exec_lo, exec_lo, s0
	s_wait_dscnt 0x2
	v_lshrrev_b32_e32 v38, 16, v6
	v_lshrrev_b32_e32 v11, 16, v1
	s_wait_dscnt 0x1
	v_lshrrev_b32_e32 v41, 16, v4
	v_lshrrev_b32_e32 v43, 16, v7
	;; [unrolled: 1-line block ×3, first 2 shown]
	v_mul_f16_e32 v48, v101, v38
	v_mul_f16_e32 v46, v102, v11
	;; [unrolled: 1-line block ×4, first 2 shown]
	s_wait_dscnt 0x0
	v_lshrrev_b32_e32 v71, 16, v10
	v_fmac_f16_e32 v48, v28, v6
	v_mul_f16_e32 v6, v100, v41
	v_fmac_f16_e32 v46, v27, v1
	v_fma_f16 v11, v27, v11, -v47
	v_fma_f16 v27, v28, v38, -v72
	v_mul_f16_e32 v1, v100, v4
	v_mul_f16_e32 v28, v98, v43
	;; [unrolled: 1-line block ×3, first 2 shown]
	v_fmac_f16_e32 v6, v25, v4
	v_mul_f16_e32 v47, v99, v45
	v_mul_f16_e32 v4, v99, v5
	v_fma_f16 v25, v25, v41, -v1
	v_fmac_f16_e32 v28, v26, v7
	v_fma_f16 v7, v26, v43, -v38
	v_fmac_f16_e32 v47, v23, v5
	v_mul_f16_e32 v26, v97, v71
	v_mul_f16_e32 v5, v97, v10
	;; [unrolled: 1-line block ×3, first 2 shown]
	v_fma_f16 v23, v23, v45, -v4
	v_mul_f16_e32 v4, v96, v79
	v_lshrrev_b32_e32 v37, 16, v2
	v_fmac_f16_e32 v26, v24, v10
	v_fma_f16 v10, v24, v71, -v5
	v_fmac_f16_e32 v1, v21, v79
	v_add_f16_e32 v24, v46, v48
	v_fma_f16 v5, v21, v77, -v4
	v_mul_f16_e32 v21, v95, v40
	v_mul_f16_e32 v4, v95, v42
	v_add_f16_e32 v38, v2, v46
	v_fma_f16 v24, -0.5, v24, v2
	v_sub_f16_e32 v41, v11, v27
	v_fma_f16 v2, v22, v42, -v21
	v_add_f16_e32 v21, v11, v27
	v_add_f16_e32 v11, v37, v11
	v_fmac_f16_e32 v4, v22, v40
	v_add_f16_e32 v22, v6, v28
	v_lshrrev_b32_e32 v39, 16, v3
	v_fmac_f16_e32 v37, -0.5, v21
	v_add_f16_e32 v27, v11, v27
	v_add_f16_e32 v11, v3, v6
	v_sub_f16_e32 v21, v46, v48
	v_fmac_f16_e32 v3, -0.5, v22
	v_sub_f16_e32 v22, v25, v7
	v_lshrrev_b32_e32 v44, 16, v0
	v_add_f16_e32 v42, v11, v28
	v_add_f16_e32 v11, v25, v7
	v_fmamk_f16 v40, v41, 0xbaee, v24
	v_fmac_f16_e32 v24, 0x3aee, v41
	v_fmamk_f16 v41, v21, 0x3aee, v37
	v_fmac_f16_e32 v37, 0xbaee, v21
	v_fmamk_f16 v43, v22, 0xbaee, v3
	v_add_f16_e32 v21, v39, v25
	v_fmac_f16_e32 v3, 0x3aee, v22
	v_add_f16_e32 v22, v47, v26
	v_fmac_f16_e32 v39, -0.5, v11
	v_sub_f16_e32 v6, v6, v28
	v_add_f16_e32 v11, v0, v47
	v_add_f16_e32 v7, v21, v7
	v_fmac_f16_e32 v0, -0.5, v22
	v_sub_f16_e32 v21, v23, v10
	v_fmamk_f16 v25, v6, 0x3aee, v39
	v_fmac_f16_e32 v39, 0xbaee, v6
	v_add_f16_e32 v6, v11, v26
	v_add_f16_e32 v11, v44, v23
	;; [unrolled: 1-line block ×3, first 2 shown]
	v_fmamk_f16 v28, v21, 0xbaee, v0
	v_fmac_f16_e32 v0, 0x3aee, v21
	v_add_f16_e32 v21, v1, v4
	v_add_f16_e32 v23, v11, v10
	;; [unrolled: 1-line block ×3, first 2 shown]
	v_fmac_f16_e32 v44, -0.5, v22
	v_sub_f16_e32 v22, v47, v26
	v_add_f16_e32 v38, v38, v48
	v_fma_f16 v10, -0.5, v21, v8
	v_sub_f16_e32 v26, v5, v2
	v_fma_f16 v21, -0.5, v11, v9
	v_sub_f16_e32 v45, v1, v4
	v_fmamk_f16 v46, v22, 0x3aee, v44
	v_fmac_f16_e32 v44, 0xbaee, v22
	v_fmamk_f16 v11, v26, 0xbaee, v10
	v_fmac_f16_e32 v10, 0x3aee, v26
	v_fmamk_f16 v22, v45, 0x3aee, v21
	v_fmac_f16_e32 v21, 0xbaee, v45
	v_pack_b32_f16 v26, v38, v27
	v_pack_b32_f16 v27, v40, v41
	;; [unrolled: 1-line block ×9, first 2 shown]
	global_wb scope:SCOPE_SE
	s_barrier_signal -1
	s_barrier_wait -1
	global_inv scope:SCOPE_SE
	ds_store_2addr_b32 v92, v26, v27 offset1:26
	ds_store_b32 v92, v24 offset:208
	ds_store_2addr_b32 v91, v7, v25 offset1:26
	ds_store_b32 v91, v3 offset:208
	;; [unrolled: 2-line block ×3, first 2 shown]
	s_and_saveexec_b32 s0, vcc_lo
	s_cbranch_execz .LBB0_21
; %bb.20:
	v_add_f16_e32 v0, v5, v9
	v_add_f16_e32 v1, v1, v8
	v_and_b32_e32 v3, 0xffff, v89
	s_delay_alu instid0(VALU_DEP_3) | instskip(NEXT) | instid1(VALU_DEP_3)
	v_add_f16_e32 v0, v2, v0
	v_add_f16_e32 v1, v1, v4
	v_perm_b32 v2, v22, v11, 0x5040100
	s_delay_alu instid0(VALU_DEP_4) | instskip(NEXT) | instid1(VALU_DEP_3)
	v_lshlrev_b32_e32 v3, 2, v3
	v_pack_b32_f16 v0, v1, v0
	v_perm_b32 v1, v21, v10, 0x5040100
	ds_store_2addr_b32 v3, v0, v2 offset1:26
	ds_store_b32 v3, v1 offset:208
.LBB0_21:
	s_wait_alu 0xfffe
	s_or_b32 exec_lo, exec_lo, s0
	v_add_nc_u32_e32 v2, 0x200, v52
	v_add_nc_u32_e32 v8, 0x600, v52
	v_add_nc_u32_e32 v6, 0xa00, v52
	v_add_nc_u32_e32 v9, 0xe00, v52
	global_wb scope:SCOPE_SE
	s_wait_dscnt 0x0
	s_barrier_signal -1
	s_barrier_wait -1
	global_inv scope:SCOPE_SE
	ds_load_2addr_b32 v[0:1], v52 offset1:117
	ds_load_2addr_b32 v[2:3], v2 offset0:106 offset1:223
	ds_load_2addr_b32 v[4:5], v8 offset0:84 offset1:201
	;; [unrolled: 1-line block ×4, first 2 shown]
	global_wb scope:SCOPE_SE
	s_wait_dscnt 0x0
	s_barrier_signal -1
	s_barrier_wait -1
	global_inv scope:SCOPE_SE
	v_lshrrev_b32_e32 v9, 16, v2
	v_lshrrev_b32_e32 v27, 16, v4
	;; [unrolled: 1-line block ×3, first 2 shown]
	v_mul_f16_e32 v41, v117, v2
	v_mul_f16_e32 v43, v118, v4
	v_lshrrev_b32_e32 v37, 16, v23
	v_lshrrev_b32_e32 v38, 16, v3
	;; [unrolled: 1-line block ×3, first 2 shown]
	v_mul_f16_e32 v45, v117, v9
	v_fma_f16 v9, v16, v9, -v41
	v_mul_f16_e32 v41, v118, v27
	v_fma_f16 v27, v17, v27, -v43
	v_mul_f16_e32 v43, v116, v28
	v_lshrrev_b32_e32 v40, 16, v7
	v_mul_f16_e32 v44, v116, v6
	v_mul_f16_e32 v46, v114, v37
	v_fmac_f16_e32 v45, v16, v2
	v_fmac_f16_e32 v41, v17, v4
	;; [unrolled: 1-line block ×3, first 2 shown]
	v_mul_f16_e32 v2, v114, v23
	v_mul_f16_e32 v4, v120, v38
	;; [unrolled: 1-line block ×5, first 2 shown]
	v_lshrrev_b32_e32 v42, 16, v24
	v_fma_f16 v28, v18, v28, -v44
	v_fmac_f16_e32 v46, v19, v23
	v_fma_f16 v2, v19, v37, -v2
	v_fmac_f16_e32 v4, v12, v3
	;; [unrolled: 2-line block ×3, first 2 shown]
	v_fma_f16 v5, v13, v39, -v17
	v_add_f16_e32 v6, v41, v43
	v_mul_f16_e32 v13, v115, v40
	v_mul_f16_e32 v12, v115, v7
	v_add_f16_e32 v18, v0, v45
	v_lshrrev_b32_e32 v25, 16, v0
	v_mul_f16_e32 v17, v113, v42
	v_fma_f16 v6, -0.5, v6, v0
	v_sub_f16_e32 v19, v9, v2
	v_fmac_f16_e32 v13, v14, v7
	v_fma_f16 v7, v14, v40, -v12
	v_add_f16_e32 v12, v18, v41
	v_add_f16_e32 v38, v45, v46
	v_fmac_f16_e32 v17, v15, v24
	v_fmamk_f16 v14, v19, 0xbb9c, v6
	v_sub_f16_e32 v18, v27, v28
	v_sub_f16_e32 v23, v45, v41
	;; [unrolled: 1-line block ×3, first 2 shown]
	v_mul_f16_e32 v24, v113, v24
	v_add_f16_e32 v12, v12, v43
	v_fma_f16 v0, -0.5, v38, v0
	v_fmac_f16_e32 v6, 0x3b9c, v19
	v_add_f16_e32 v39, v25, v9
	v_fmac_f16_e32 v14, 0xb8b4, v18
	v_add_f16_e32 v23, v23, v37
	v_fma_f16 v15, v15, v42, -v24
	v_add_f16_e32 v24, v12, v46
	v_fmamk_f16 v37, v18, 0x3b9c, v0
	v_sub_f16_e32 v12, v41, v45
	v_sub_f16_e32 v38, v43, v46
	v_fmac_f16_e32 v6, 0x38b4, v18
	v_add_f16_e32 v40, v27, v28
	v_fmac_f16_e32 v0, 0xbb9c, v18
	v_add_f16_e32 v18, v39, v27
	;; [unrolled: 2-line block ×3, first 2 shown]
	v_fma_f16 v38, -0.5, v40, v25
	v_sub_f16_e32 v39, v45, v46
	v_fmac_f16_e32 v6, 0x34f2, v23
	v_add_f16_e32 v18, v18, v28
	v_add_f16_e32 v23, v9, v2
	v_fmac_f16_e32 v37, 0xb8b4, v19
	v_fmac_f16_e32 v0, 0x38b4, v19
	v_fmamk_f16 v19, v39, 0x3b9c, v38
	v_sub_f16_e32 v40, v41, v43
	v_sub_f16_e32 v41, v9, v27
	;; [unrolled: 1-line block ×3, first 2 shown]
	v_fmac_f16_e32 v25, -0.5, v23
	v_add_f16_e32 v18, v18, v2
	v_fmac_f16_e32 v38, 0xbb9c, v39
	v_sub_f16_e32 v9, v27, v9
	v_sub_f16_e32 v2, v28, v2
	v_add_f16_e32 v27, v16, v13
	v_fmac_f16_e32 v37, 0x34f2, v12
	v_fmac_f16_e32 v0, 0x34f2, v12
	;; [unrolled: 1-line block ×3, first 2 shown]
	v_add_f16_e32 v12, v41, v42
	v_fmamk_f16 v23, v40, 0xbb9c, v25
	v_fmac_f16_e32 v38, 0xb8b4, v40
	v_add_f16_e32 v2, v9, v2
	v_fmac_f16_e32 v25, 0x3b9c, v40
	v_add_f16_e32 v28, v1, v4
	v_fma_f16 v9, -0.5, v27, v1
	v_sub_f16_e32 v27, v3, v15
	v_fmac_f16_e32 v19, 0x34f2, v12
	v_fmac_f16_e32 v23, 0x38b4, v39
	;; [unrolled: 1-line block ×4, first 2 shown]
	v_add_f16_e32 v12, v28, v16
	v_fmamk_f16 v28, v27, 0xbb9c, v9
	v_sub_f16_e32 v39, v5, v7
	v_sub_f16_e32 v40, v4, v16
	;; [unrolled: 1-line block ×3, first 2 shown]
	v_fmac_f16_e32 v9, 0x3b9c, v27
	v_add_f16_e32 v42, v4, v17
	v_lshrrev_b32_e32 v26, 16, v1
	v_add_f16_e32 v12, v12, v13
	v_fmac_f16_e32 v28, 0xb8b4, v39
	v_add_f16_e32 v40, v40, v41
	v_fmac_f16_e32 v9, 0x38b4, v39
	v_fmac_f16_e32 v1, -0.5, v42
	v_sub_f16_e32 v41, v16, v4
	v_sub_f16_e32 v42, v13, v17
	v_fmac_f16_e32 v23, 0x34f2, v2
	v_fmac_f16_e32 v25, 0x34f2, v2
	v_add_f16_e32 v2, v12, v17
	v_fmac_f16_e32 v28, 0x34f2, v40
	v_fmac_f16_e32 v9, 0x34f2, v40
	v_fmamk_f16 v40, v39, 0x3b9c, v1
	v_add_f16_e32 v12, v5, v7
	v_fmac_f16_e32 v1, 0xbb9c, v39
	v_sub_f16_e32 v4, v4, v17
	v_add_f16_e32 v17, v41, v42
	v_add_f16_e32 v41, v3, v15
	;; [unrolled: 1-line block ×3, first 2 shown]
	v_fma_f16 v12, -0.5, v12, v26
	v_fmac_f16_e32 v40, 0xb8b4, v27
	v_fmac_f16_e32 v1, 0x38b4, v27
	v_sub_f16_e32 v13, v16, v13
	v_fmac_f16_e32 v26, -0.5, v41
	v_add_f16_e32 v27, v39, v5
	v_fmac_f16_e32 v40, 0x34f2, v17
	v_fmac_f16_e32 v1, 0x34f2, v17
	v_sub_f16_e32 v17, v3, v5
	v_fmamk_f16 v41, v13, 0xbb9c, v26
	v_sub_f16_e32 v3, v5, v3
	v_sub_f16_e32 v5, v7, v15
	v_fmac_f16_e32 v26, 0x3b9c, v13
	v_fmamk_f16 v39, v4, 0x3b9c, v12
	v_add_f16_e32 v16, v27, v7
	v_sub_f16_e32 v27, v15, v7
	v_fmac_f16_e32 v12, 0xbb9c, v4
	v_fmac_f16_e32 v41, 0x38b4, v4
	v_add_f16_e32 v3, v3, v5
	v_fmac_f16_e32 v26, 0xb8b4, v4
	v_fmac_f16_e32 v39, 0x38b4, v13
	v_add_f16_e32 v7, v17, v27
	v_fmac_f16_e32 v12, 0xb8b4, v13
	v_fmac_f16_e32 v41, 0x34f2, v3
	;; [unrolled: 1-line block ×3, first 2 shown]
	v_pack_b32_f16 v3, v24, v18
	v_pack_b32_f16 v5, v14, v19
	v_add_f16_e32 v4, v16, v15
	v_fmac_f16_e32 v39, 0x34f2, v7
	v_fmac_f16_e32 v12, 0x34f2, v7
	v_pack_b32_f16 v0, v0, v25
	ds_store_2addr_b32 v93, v3, v5 offset1:78
	v_pack_b32_f16 v3, v37, v23
	v_pack_b32_f16 v5, v6, v38
	;; [unrolled: 1-line block ×7, first 2 shown]
	ds_store_2addr_b32 v93, v3, v0 offset0:156 offset1:234
	ds_store_b32 v93, v5 offset:1248
	ds_store_2addr_b32 v94, v2, v4 offset1:78
	ds_store_2addr_b32 v94, v6, v1 offset0:156 offset1:234
	ds_store_b32 v94, v7 offset:1248
	v_add_nc_u32_e32 v0, 0x300, v52
	v_add_nc_u32_e32 v4, 0xc00, v52
	global_wb scope:SCOPE_SE
	s_wait_dscnt 0x0
	s_barrier_signal -1
	s_barrier_wait -1
	global_inv scope:SCOPE_SE
	ds_load_2addr_b32 v[2:3], v52 offset1:117
	ds_load_2addr_b32 v[0:1], v0 offset0:42 offset1:198
	ds_load_2addr_b32 v[6:7], v4 offset0:12 offset1:129
	;; [unrolled: 1-line block ×3, first 2 shown]
	ds_load_b32 v13, v52 offset:4056
	s_and_saveexec_b32 s0, vcc_lo
	s_cbranch_execz .LBB0_23
; %bb.22:
	ds_load_b32 v9, v52 offset:1404
	ds_load_b32 v11, v52 offset:2964
	ds_load_b32 v10, v52 offset:4524
	s_wait_dscnt 0x2
	v_lshrrev_b32_e32 v12, 16, v9
	s_wait_dscnt 0x1
	v_lshrrev_b32_e32 v22, 16, v11
	;; [unrolled: 2-line block ×3, first 2 shown]
.LBB0_23:
	s_wait_alu 0xfffe
	s_or_b32 exec_lo, exec_lo, s0
	s_wait_dscnt 0x3
	v_lshrrev_b32_e32 v15, 16, v1
	s_wait_dscnt 0x2
	v_lshrrev_b32_e32 v16, 16, v6
	;; [unrolled: 2-line block ×3, first 2 shown]
	v_lshrrev_b32_e32 v19, 16, v7
	v_mul_f16_e32 v26, v110, v1
	v_mul_f16_e32 v24, v110, v15
	;; [unrolled: 1-line block ×3, first 2 shown]
	v_lshrrev_b32_e32 v25, 16, v5
	s_wait_dscnt 0x0
	v_lshrrev_b32_e32 v27, 16, v13
	v_fma_f16 v15, v33, v15, -v26
	v_fmac_f16_e32 v24, v33, v1
	v_mul_f16_e32 v1, v109, v6
	v_mul_f16_e32 v26, v108, v18
	v_fmac_f16_e32 v28, v34, v6
	v_mul_f16_e32 v6, v108, v4
	v_lshrrev_b32_e32 v14, 16, v2
	v_fma_f16 v1, v34, v16, -v1
	v_mul_f16_e32 v16, v107, v19
	v_fmac_f16_e32 v26, v31, v4
	v_mul_f16_e32 v4, v107, v7
	v_fma_f16 v6, v31, v18, -v6
	v_mul_f16_e32 v18, v112, v25
	v_fmac_f16_e32 v16, v32, v7
	v_mul_f16_e32 v7, v112, v5
	;; [unrolled: 4-line block ×3, first 2 shown]
	v_fma_f16 v7, v35, v25, -v7
	v_add_f16_e32 v25, v24, v28
	v_fmac_f16_e32 v19, v36, v13
	v_add_f16_e32 v13, v2, v24
	v_fma_f16 v5, v36, v27, -v5
	v_add_f16_e32 v27, v15, v1
	v_fma_f16 v2, -0.5, v25, v2
	v_sub_f16_e32 v25, v15, v1
	v_add_f16_e32 v15, v14, v15
	v_add_f16_e32 v13, v13, v28
	v_fmac_f16_e32 v14, -0.5, v27
	v_sub_f16_e32 v24, v24, v28
	v_add_f16_e32 v28, v3, v26
	v_add_f16_e32 v1, v15, v1
	;; [unrolled: 1-line block ×3, first 2 shown]
	v_lshrrev_b32_e32 v17, 16, v3
	v_lshrrev_b32_e32 v23, 16, v0
	v_fmamk_f16 v27, v25, 0xbaee, v2
	v_fmac_f16_e32 v2, 0x3aee, v25
	v_fmamk_f16 v25, v24, 0x3aee, v14
	v_fmac_f16_e32 v14, 0xbaee, v24
	v_add_f16_e32 v24, v6, v4
	v_fmac_f16_e32 v3, -0.5, v15
	v_sub_f16_e32 v15, v6, v4
	v_add_f16_e32 v28, v28, v16
	v_sub_f16_e32 v16, v26, v16
	v_add_f16_e32 v26, v18, v19
	v_add_f16_e32 v31, v7, v5
	;; [unrolled: 1-line block ×3, first 2 shown]
	v_fmac_f16_e32 v17, -0.5, v24
	v_fmamk_f16 v24, v15, 0xbaee, v3
	v_fmac_f16_e32 v3, 0x3aee, v15
	v_add_f16_e32 v15, v0, v18
	v_fmac_f16_e32 v0, -0.5, v26
	v_sub_f16_e32 v26, v7, v5
	v_add_f16_e32 v7, v23, v7
	v_fmac_f16_e32 v23, -0.5, v31
	v_sub_f16_e32 v18, v18, v19
	v_add_f16_e32 v4, v6, v4
	v_fmamk_f16 v6, v16, 0x3aee, v17
	v_add_f16_e32 v5, v7, v5
	v_pack_b32_f16 v7, v27, v25
	v_fmac_f16_e32 v17, 0xbaee, v16
	v_pack_b32_f16 v2, v2, v14
	v_add_f16_e32 v15, v15, v19
	v_fmamk_f16 v16, v26, 0xbaee, v0
	v_fmamk_f16 v14, v18, 0x3aee, v23
	v_fmac_f16_e32 v0, 0x3aee, v26
	v_fmac_f16_e32 v23, 0xbaee, v18
	v_pack_b32_f16 v1, v13, v1
	ds_store_b32 v52, v7 offset:1560
	ds_store_b32 v52, v2 offset:3120
	v_pack_b32_f16 v2, v28, v4
	v_pack_b32_f16 v3, v3, v17
	;; [unrolled: 1-line block ×6, first 2 shown]
	ds_store_2addr_b32 v52, v1, v2 offset1:117
	ds_store_b32 v52, v3 offset:3588
	ds_store_b32 v52, v5 offset:936
	ds_store_2addr_b32 v8, v4, v6 offset0:123 offset1:240
	ds_store_b32 v52, v0 offset:4056
	s_and_saveexec_b32 s0, vcc_lo
	s_cbranch_execz .LBB0_25
; %bb.24:
	v_mul_f16_e32 v0, v103, v10
	v_mul_f16_e32 v1, v104, v11
	;; [unrolled: 1-line block ×4, first 2 shown]
	s_delay_alu instid0(VALU_DEP_4) | instskip(NEXT) | instid1(VALU_DEP_4)
	v_fma_f16 v0, v30, v21, -v0
	v_fma_f16 v1, v29, v22, -v1
	s_delay_alu instid0(VALU_DEP_4) | instskip(NEXT) | instid1(VALU_DEP_4)
	v_fmac_f16_e32 v2, v29, v11
	v_fmac_f16_e32 v3, v30, v10
	s_delay_alu instid0(VALU_DEP_3) | instskip(SKIP_1) | instid1(VALU_DEP_3)
	v_add_f16_e32 v4, v1, v0
	v_add_f16_e32 v5, v1, v12
	v_add_f16_e32 v6, v2, v3
	v_add_f16_e32 v7, v2, v9
	v_sub_f16_e32 v2, v2, v3
	v_fmac_f16_e32 v12, -0.5, v4
	v_sub_f16_e32 v1, v1, v0
	v_fmac_f16_e32 v9, -0.5, v6
	v_add_f16_e32 v0, v0, v5
	v_add_f16_e32 v3, v7, v3
	v_fmamk_f16 v4, v2, 0xbaee, v12
	v_fmac_f16_e32 v12, 0x3aee, v2
	v_fmamk_f16 v2, v1, 0x3aee, v9
	v_fmac_f16_e32 v9, 0xbaee, v1
	v_pack_b32_f16 v0, v3, v0
	s_delay_alu instid0(VALU_DEP_3) | instskip(NEXT) | instid1(VALU_DEP_3)
	v_pack_b32_f16 v2, v2, v4
	v_pack_b32_f16 v1, v9, v12
	ds_store_b32 v52, v0 offset:1404
	ds_store_b32 v52, v1 offset:2964
	;; [unrolled: 1-line block ×3, first 2 shown]
.LBB0_25:
	s_wait_alu 0xfffe
	s_or_b32 exec_lo, exec_lo, s0
	global_wb scope:SCOPE_SE
	s_wait_dscnt 0x0
	s_barrier_signal -1
	s_barrier_wait -1
	global_inv scope:SCOPE_SE
	ds_load_2addr_b32 v[2:3], v52 offset1:117
	v_mad_co_u64_u32 v[16:17], null, s6, v20, 0
	v_add_nc_u32_e32 v0, 0x600, v52
	s_mov_b32 s8, 0x1c01c01c
	s_mov_b32 s9, 0x3f4c01c0
	v_mad_co_u64_u32 v[18:19], null, s4, v63, 0
	ds_load_2addr_b32 v[0:1], v0 offset0:84 offset1:201
	s_wait_dscnt 0x1
	v_lshrrev_b32_e32 v4, 16, v2
	v_mul_f16_e32 v5, v70, v2
	v_lshrrev_b32_e32 v14, 16, v3
	s_delay_alu instid0(VALU_DEP_3) | instskip(NEXT) | instid1(VALU_DEP_3)
	v_mul_f16_e32 v6, v70, v4
	v_fma_f16 v4, v66, v4, -v5
	s_delay_alu instid0(VALU_DEP_3)
	v_mul_f16_e32 v9, v68, v14
	s_wait_dscnt 0x0
	v_lshrrev_b32_e32 v8, 16, v1
	v_mul_f16_e32 v7, v69, v1
	v_fmac_f16_e32 v6, v66, v2
	v_cvt_f32_f16_e32 v2, v4
	v_fmac_f16_e32 v9, v65, v3
	v_mul_f16_e32 v12, v69, v8
	s_delay_alu instid0(VALU_DEP_4) | instskip(NEXT) | instid1(VALU_DEP_4)
	v_cvt_f32_f16_e32 v6, v6
	v_cvt_f64_f32_e32 v[4:5], v2
	v_fma_f16 v2, v67, v8, -v7
	v_cvt_f32_f16_e32 v10, v9
	v_fmac_f16_e32 v12, v67, v1
	v_cvt_f64_f32_e32 v[6:7], v6
	s_delay_alu instid0(VALU_DEP_4) | instskip(NEXT) | instid1(VALU_DEP_4)
	v_cvt_f32_f16_e32 v2, v2
	v_cvt_f64_f32_e32 v[10:11], v10
	s_delay_alu instid0(VALU_DEP_4) | instskip(NEXT) | instid1(VALU_DEP_3)
	v_cvt_f32_f16_e32 v1, v12
	v_cvt_f64_f32_e32 v[8:9], v2
	v_mul_f16_e32 v2, v68, v3
	s_delay_alu instid0(VALU_DEP_3) | instskip(NEXT) | instid1(VALU_DEP_2)
	v_cvt_f64_f32_e32 v[12:13], v1
	v_fma_f16 v1, v65, v14, -v2
	v_add_nc_u32_e32 v2, 0xa00, v52
	s_delay_alu instid0(VALU_DEP_2) | instskip(NEXT) | instid1(VALU_DEP_1)
	v_cvt_f32_f16_e32 v3, v1
	v_cvt_f64_f32_e32 v[14:15], v3
	s_wait_alu 0xfffe
	v_mul_f64_e32 v[3:4], s[8:9], v[4:5]
	v_mul_f64_e32 v[5:6], s[8:9], v[6:7]
	;; [unrolled: 1-line block ×4, first 2 shown]
	v_mov_b32_e32 v11, v17
	v_mov_b32_e32 v17, v19
	ds_load_2addr_b32 v[1:2], v2 offset0:62 offset1:179
	v_mad_co_u64_u32 v[19:20], null, s7, v20, v[11:12]
	v_mul_f64_e32 v[11:12], s[8:9], v[12:13]
	v_mad_co_u64_u32 v[20:21], null, s5, v63, v[17:18]
	s_wait_dscnt 0x0
	v_lshrrev_b32_e32 v22, 16, v1
	v_and_or_b32 v3, 0x1ff, v4, v3
	v_bfe_u32 v21, v4, 20, 11
	s_delay_alu instid0(VALU_DEP_3) | instskip(SKIP_1) | instid1(VALU_DEP_4)
	v_mul_f16_e32 v13, v64, v22
	v_and_or_b32 v5, 0x1ff, v6, v5
	v_cmp_ne_u32_e32 vcc_lo, 0, v3
	v_bfe_u32 v24, v6, 20, 11
	s_delay_alu instid0(VALU_DEP_4)
	v_fmac_f16_e32 v13, v61, v1
	v_mov_b32_e32 v17, v19
	v_lshrrev_b32_e32 v23, 8, v6
	s_wait_alu 0xfffd
	v_cndmask_b32_e64 v3, 0, 1, vcc_lo
	v_and_or_b32 v7, 0x1ff, v8, v7
	v_cmp_ne_u32_e32 vcc_lo, 0, v5
	v_bfe_u32 v27, v8, 20, 11
	v_lshrrev_b32_e32 v26, 8, v8
	v_and_or_b32 v9, 0x1ff, v10, v9
	v_sub_nc_u32_e32 v25, 0x3f1, v21
	s_wait_alu 0xfffd
	v_cndmask_b32_e64 v5, 0, 1, vcc_lo
	v_cmp_ne_u32_e32 vcc_lo, 0, v7
	v_sub_nc_u32_e32 v32, 0x3f1, v27
	v_add_nc_u32_e32 v27, 0xfffffc10, v27
	v_sub_nc_u32_e32 v30, 0x3f1, v24
	v_and_or_b32 v11, 0x1ff, v12, v11
	s_wait_alu 0xfffd
	v_cndmask_b32_e64 v7, 0, 1, vcc_lo
	v_cmp_ne_u32_e32 vcc_lo, 0, v9
	v_and_or_b32 v5, 0xffe, v23, v5
	v_med3_i32 v23, v30, 0, 13
	v_add_nc_u32_e32 v24, 0xfffffc10, v24
	v_and_or_b32 v7, 0xffe, v26, v7
	v_med3_i32 v26, v32, 0, 13
	v_mov_b32_e32 v19, v20
	v_cvt_f32_f16_e32 v20, v13
	v_mul_f64_e32 v[13:14], s[8:9], v[14:15]
	v_lshrrev_b32_e32 v15, 8, v4
	s_wait_alu 0xfffd
	v_cndmask_b32_e64 v9, 0, 1, vcc_lo
	v_lshl_or_b32 v37, v27, 12, v7
	v_add_nc_u32_e32 v21, 0xfffffc10, v21
	v_bfe_u32 v31, v12, 20, 11
	v_and_or_b32 v3, 0xffe, v15, v3
	v_med3_i32 v15, v25, 0, 13
	v_lshrrev_b32_e32 v25, 8, v12
	v_or_b32_e32 v32, 0x1000, v5
	v_sub_nc_u32_e32 v34, 0x3f1, v31
	v_cmp_ne_u32_e32 vcc_lo, 0, v3
	v_or_b32_e32 v30, 0x1000, v3
	v_lshl_or_b32 v33, v21, 12, v3
	v_lshl_or_b32 v35, v24, 12, v5
	v_add_nc_u32_e32 v31, 0xfffffc10, v31
	s_wait_alu 0xfffd
	v_cndmask_b32_e64 v3, 0, 1, vcc_lo
	v_cmp_ne_u32_e32 vcc_lo, 0, v11
	v_lshrrev_b32_e32 v36, v15, v30
	v_lshrrev_b32_e32 v38, v23, v32
	v_cmp_gt_i32_e64 s1, 1, v31
	v_lshl_or_b32 v3, v3, 9, 0x7c00
	s_wait_alu 0xfffd
	v_cndmask_b32_e64 v11, 0, 1, vcc_lo
	v_cmp_ne_u32_e32 vcc_lo, 0, v5
	v_lshlrev_b32_e32 v15, v15, v36
	v_lshlrev_b32_e32 v23, v23, v38
	v_lshrrev_b32_e32 v6, 16, v6
	v_and_or_b32 v11, 0xffe, v25, v11
	s_wait_alu 0xfffd
	v_cndmask_b32_e64 v5, 0, 1, vcc_lo
	v_cmp_ne_u32_e32 vcc_lo, 0, v7
	v_med3_i32 v25, v34, 0, 13
	v_or_b32_e32 v34, 0x1000, v7
	v_or_b32_e32 v39, 0x1000, v11
	v_lshl_or_b32 v40, v31, 12, v11
	s_wait_alu 0xfffd
	v_cndmask_b32_e64 v7, 0, 1, vcc_lo
	v_cmp_ne_u32_e32 vcc_lo, 0, v11
	v_lshrrev_b32_e32 v41, v26, v34
	v_lshl_or_b32 v5, v5, 9, 0x7c00
	v_lshrrev_b32_e32 v4, 16, v4
	v_bfe_u32 v29, v10, 20, 11
	s_wait_alu 0xfffd
	v_cndmask_b32_e64 v11, 0, 1, vcc_lo
	v_cmp_ne_u32_e32 vcc_lo, v15, v30
	v_lshlrev_b32_e32 v26, v26, v41
	v_lshrrev_b32_e32 v30, v25, v39
	v_lshrrev_b32_e32 v28, 8, v10
	v_lshl_or_b32 v11, v11, 9, 0x7c00
	s_wait_alu 0xfffd
	v_cndmask_b32_e64 v15, 0, 1, vcc_lo
	v_cmp_ne_u32_e32 vcc_lo, v23, v32
	v_lshlrev_b32_e32 v25, v25, v30
	v_lshrrev_b32_e32 v12, 16, v12
	v_and_or_b32 v9, 0xffe, v28, v9
	v_or_b32_e32 v15, v36, v15
	s_wait_alu 0xfffd
	v_cndmask_b32_e64 v23, 0, 1, vcc_lo
	v_cmp_ne_u32_e32 vcc_lo, v26, v34
	v_lshlrev_b64_e32 v[16:17], 2, v[16:17]
	v_lshrrev_b32_e32 v8, 16, v8
	v_and_or_b32 v13, 0x1ff, v14, v13
	v_or_b32_e32 v23, v38, v23
	s_wait_alu 0xfffd
	v_cndmask_b32_e64 v26, 0, 1, vcc_lo
	v_cmp_gt_i32_e32 vcc_lo, 1, v21
	v_mul_f16_e32 v1, v64, v1
	s_delay_alu instid0(VALU_DEP_3) | instskip(SKIP_4) | instid1(VALU_DEP_3)
	v_or_b32_e32 v26, v41, v26
	s_wait_alu 0xfffd
	v_cndmask_b32_e32 v15, v33, v15, vcc_lo
	v_cmp_ne_u32_e32 vcc_lo, v25, v39
	v_fma_f16 v1, v61, v22, -v1
	v_and_b32_e32 v32, 7, v15
	s_wait_alu 0xfffd
	v_cndmask_b32_e64 v25, 0, 1, vcc_lo
	v_cmp_gt_i32_e32 vcc_lo, 1, v24
	v_cvt_f32_f16_e32 v1, v1
	v_cmp_eq_u32_e64 s0, 3, v32
	s_delay_alu instid0(VALU_DEP_4) | instskip(SKIP_1) | instid1(VALU_DEP_1)
	v_or_b32_e32 v25, v30, v25
	s_wait_alu 0xf1ff
	v_cndmask_b32_e64 v25, v40, v25, s1
	s_wait_alu 0xfffd
	v_cndmask_b32_e32 v23, v35, v23, vcc_lo
	v_cmp_gt_i32_e32 vcc_lo, 1, v27
	s_delay_alu instid0(VALU_DEP_2) | instskip(SKIP_3) | instid1(VALU_DEP_3)
	v_and_b32_e32 v30, 7, v23
	s_wait_alu 0xfffd
	v_cndmask_b32_e32 v26, v37, v26, vcc_lo
	v_cmp_lt_i32_e32 vcc_lo, 5, v32
	v_cmp_lt_i32_e64 s1, 5, v30
	s_delay_alu instid0(VALU_DEP_3)
	v_and_b32_e32 v32, 7, v26
	v_lshrrev_b32_e32 v15, 2, v15
	v_cmp_eq_u32_e64 s2, 3, v30
	s_or_b32 vcc_lo, s0, vcc_lo
	v_and_b32_e32 v30, 7, v25
	v_lshrrev_b32_e32 v23, 2, v23
	s_wait_alu 0xfffe
	v_add_co_ci_u32_e32 v15, vcc_lo, 0, v15, vcc_lo
	s_or_b32 vcc_lo, s2, s1
	v_cmp_gt_i32_e64 s0, 31, v24
	s_wait_alu 0xfffe
	v_add_co_ci_u32_e32 v23, vcc_lo, 0, v23, vcc_lo
	v_cmp_eq_u32_e64 s2, 0x40f, v24
	v_cmp_eq_u32_e64 s1, 3, v30
	v_lshrrev_b32_e32 v25, 2, v25
	s_wait_alu 0xf1ff
	v_cndmask_b32_e64 v23, 0x7c00, v23, s0
	v_cmp_gt_i32_e64 s0, 31, v21
	v_cmp_lt_i32_e32 vcc_lo, 5, v32
	v_lshrrev_b32_e32 v26, 2, v26
	s_delay_alu instid0(VALU_DEP_4)
	v_cndmask_b32_e64 v5, v23, v5, s2
	s_wait_alu 0xf1ff
	v_cndmask_b32_e64 v15, 0x7c00, v15, s0
	v_cmp_lt_i32_e64 s0, 5, v30
	v_cmp_eq_u32_e64 s2, 0x40f, v21
	v_and_or_b32 v5, 0x8000, v6, v5
	s_delay_alu instid0(VALU_DEP_3) | instskip(NEXT) | instid1(VALU_DEP_2)
	s_or_b32 s0, s1, s0
	v_cndmask_b32_e64 v3, v15, v3, s2
	s_wait_alu 0xfffe
	v_add_co_ci_u32_e64 v15, s0, 0, v25, s0
	v_cmp_eq_u32_e64 s0, 3, v32
	v_cmp_gt_i32_e64 s1, 31, v31
	v_and_or_b32 v3, 0x8000, v4, v3
	v_and_b32_e32 v5, 0xffff, v5
	s_mul_u64 s[2:3], s[4:5], 0x924
	s_or_b32 vcc_lo, s0, vcc_lo
	v_cndmask_b32_e64 v4, 0x7c00, v15, s1
	s_wait_alu 0xfffe
	v_add_co_ci_u32_e32 v6, vcc_lo, 0, v26, vcc_lo
	v_cmp_eq_u32_e32 vcc_lo, 0x40f, v31
	v_lshl_or_b32 v21, v3, 16, v5
	v_or_b32_e32 v15, 0x1000, v9
	s_wait_alu 0xfffd
	v_cndmask_b32_e32 v11, v4, v11, vcc_lo
	v_cvt_f64_f32_e32 v[3:4], v20
	v_cmp_gt_i32_e32 vcc_lo, 31, v27
	s_wait_alu 0xfffd
	v_cndmask_b32_e32 v5, 0x7c00, v6, vcc_lo
	v_lshl_or_b32 v6, v7, 9, 0x7c00
	v_and_or_b32 v7, 0x8000, v12, v11
	v_sub_nc_u32_e32 v11, 0x3f1, v29
	v_cmp_eq_u32_e32 vcc_lo, 0x40f, v27
	s_delay_alu instid0(VALU_DEP_3) | instskip(NEXT) | instid1(VALU_DEP_3)
	v_and_b32_e32 v7, 0xffff, v7
	v_med3_i32 v11, v11, 0, 13
	s_wait_alu 0xfffd
	v_cndmask_b32_e32 v12, v5, v6, vcc_lo
	v_lshlrev_b64_e32 v[5:6], 2, v[18:19]
	v_add_co_u32 v16, vcc_lo, s12, v16
	s_wait_alu 0xfffd
	v_add_co_ci_u32_e32 v17, vcc_lo, s13, v17, vcc_lo
	v_and_or_b32 v8, 0x8000, v8, v12
	v_lshrrev_b32_e32 v12, v11, v15
	v_add_co_u32 v5, vcc_lo, v16, v5
	s_wait_alu 0xfffd
	v_add_co_ci_u32_e32 v6, vcc_lo, v17, v6, vcc_lo
	v_lshl_or_b32 v17, v8, 16, v7
	v_lshlrev_b32_e32 v7, v11, v12
	v_cmp_ne_u32_e32 vcc_lo, 0, v13
	v_lshrrev_b32_e32 v11, 8, v14
	v_bfe_u32 v13, v14, 20, 11
	v_add_nc_u32_e32 v18, 0xfffffc10, v29
	global_store_b32 v[5:6], v21, off
	s_wait_alu 0xfffd
	v_cndmask_b32_e64 v8, 0, 1, vcc_lo
	v_cmp_ne_u32_e32 vcc_lo, v7, v15
	v_lshl_or_b32 v16, v18, 12, v9
	v_mul_f64_e32 v[3:4], s[8:9], v[3:4]
	s_delay_alu instid0(VALU_DEP_4)
	v_and_or_b32 v19, 0xffe, v11, v8
	s_wait_alu 0xfffd
	v_cndmask_b32_e64 v15, 0, 1, vcc_lo
	v_cvt_f64_f32_e32 v[7:8], v1
	v_sub_nc_u32_e32 v11, 0x3f1, v13
	v_add_nc_u32_e32 v1, 0x200, v52
	v_cmp_gt_i32_e32 vcc_lo, 1, v18
	v_or_b32_e32 v15, v12, v15
	v_or_b32_e32 v20, 0x1000, v19
	v_med3_i32 v22, v11, 0, 13
	ds_load_2addr_b32 v[11:12], v1 offset0:106 offset1:223
	v_add_nc_u32_e32 v13, 0xfffffc10, v13
	s_wait_alu 0xfffd
	v_cndmask_b32_e32 v1, v16, v15, vcc_lo
	v_add_co_u32 v15, vcc_lo, v5, s2
	v_lshrrev_b32_e32 v23, v22, v20
	s_wait_alu 0xfffd
	v_add_co_ci_u32_e32 v16, vcc_lo, s3, v6, vcc_lo
	v_and_b32_e32 v24, 7, v1
	v_lshrrev_b32_e32 v1, 2, v1
	v_lshlrev_b32_e32 v5, v22, v23
	global_store_b32 v[15:16], v17, off
	v_lshl_or_b32 v6, v13, 12, v19
	v_cmp_lt_i32_e32 vcc_lo, 5, v24
	v_cmp_eq_u32_e64 s0, 3, v24
	v_cmp_ne_u32_e64 s1, v5, v20
	s_delay_alu instid0(VALU_DEP_2) | instskip(NEXT) | instid1(VALU_DEP_1)
	s_or_b32 vcc_lo, s0, vcc_lo
	v_cndmask_b32_e64 v5, 0, 1, s1
	s_wait_alu 0xfffe
	v_add_co_ci_u32_e32 v1, vcc_lo, 0, v1, vcc_lo
	v_cmp_ne_u32_e32 vcc_lo, 0, v9
	s_wait_dscnt 0x0
	v_lshrrev_b32_e32 v17, 16, v11
	v_or_b32_e32 v5, v23, v5
	s_wait_alu 0xfffd
	v_cndmask_b32_e64 v9, 0, 1, vcc_lo
	v_cmp_gt_i32_e32 vcc_lo, 1, v13
	v_mul_f16_e32 v20, v62, v17
	v_and_or_b32 v3, 0x1ff, v4, v3
	v_bfe_u32 v23, v4, 20, 11
	v_lshl_or_b32 v9, v9, 9, 0x7c00
	s_wait_alu 0xfffd
	v_cndmask_b32_e32 v21, v6, v5, vcc_lo
	v_mul_f64_e32 v[5:6], s[8:9], v[7:8]
	v_cmp_gt_i32_e32 vcc_lo, 31, v18
	v_fmac_f16_e32 v20, v59, v11
	v_lshrrev_b32_e32 v22, 8, v4
	v_mul_f16_e32 v11, v62, v11
	s_wait_alu 0xfffd
	v_cndmask_b32_e32 v1, 0x7c00, v1, vcc_lo
	v_cmp_ne_u32_e32 vcc_lo, 0, v3
	v_cvt_f32_f16_e32 v7, v20
	v_and_b32_e32 v20, 7, v21
	s_wait_alu 0xfffd
	v_cndmask_b32_e64 v3, 0, 1, vcc_lo
	v_cmp_eq_u32_e32 vcc_lo, 0x40f, v18
	s_delay_alu instid0(VALU_DEP_3)
	v_cmp_eq_u32_e64 s0, 3, v20
	v_lshrrev_b32_e32 v18, 2, v21
	v_cvt_f64_f32_e32 v[7:8], v7
	v_and_or_b32 v3, 0xffe, v22, v3
	s_wait_alu 0xfffd
	v_cndmask_b32_e32 v1, v1, v9, vcc_lo
	v_cmp_lt_i32_e32 vcc_lo, 5, v20
	v_lshrrev_b32_e32 v9, 16, v10
	v_sub_nc_u32_e32 v10, 0x3f1, v23
	v_or_b32_e32 v20, 0x1000, v3
	s_or_b32 vcc_lo, s0, vcc_lo
	s_movk_i32 s0, 0xf8b0
	s_delay_alu instid0(VALU_DEP_2)
	v_med3_i32 v21, v10, 0, 13
	v_fma_f16 v10, v59, v17, -v11
	s_wait_alu 0xfffe
	v_add_co_ci_u32_e32 v11, vcc_lo, 0, v18, vcc_lo
	v_cmp_ne_u32_e32 vcc_lo, 0, v19
	v_lshrrev_b32_e32 v18, v21, v20
	v_cvt_f32_f16_e32 v10, v10
	s_mov_b32 s1, -1
	s_wait_alu 0xfffd
	v_cndmask_b32_e64 v17, 0, 1, vcc_lo
	v_cmp_gt_i32_e32 vcc_lo, 31, v13
	v_lshlrev_b32_e32 v19, v21, v18
	v_and_or_b32 v5, 0x1ff, v6, v5
	s_wait_alu 0xfffe
	s_mul_u64 s[4:5], s[4:5], s[0:1]
	v_lshl_or_b32 v17, v17, 9, 0x7c00
	s_wait_alu 0xfffd
	v_cndmask_b32_e32 v11, 0x7c00, v11, vcc_lo
	v_cmp_eq_u32_e32 vcc_lo, 0x40f, v13
	v_lshrrev_b32_e32 v13, 16, v14
	s_wait_alu 0xfffd
	s_delay_alu instid0(VALU_DEP_3)
	v_cndmask_b32_e32 v11, v11, v17, vcc_lo
	v_cmp_ne_u32_e32 vcc_lo, v19, v20
	v_lshrrev_b32_e32 v19, 8, v6
	v_bfe_u32 v20, v6, 20, 11
	v_add_nc_u32_e32 v17, 0xfffffc10, v23
	v_and_or_b32 v11, 0x8000, v13, v11
	s_wait_alu 0xfffd
	v_cndmask_b32_e64 v14, 0, 1, vcc_lo
	v_cmp_ne_u32_e32 vcc_lo, 0, v5
	v_mul_f64_e32 v[7:8], s[8:9], v[7:8]
	v_lshrrev_b32_e32 v23, 16, v2
	v_lshrrev_b32_e32 v6, 16, v6
	v_or_b32_e32 v13, v18, v14
	s_wait_alu 0xfffd
	v_cndmask_b32_e64 v5, 0, 1, vcc_lo
	v_sub_nc_u32_e32 v18, 0x3f1, v20
	v_lshl_or_b32 v14, v17, 12, v3
	v_cmp_gt_i32_e32 vcc_lo, 1, v17
	s_delay_alu instid0(VALU_DEP_4) | instskip(NEXT) | instid1(VALU_DEP_4)
	v_and_or_b32 v5, 0xffe, v19, v5
	v_med3_i32 v18, v18, 0, 13
	s_wait_alu 0xfffd
	v_cndmask_b32_e32 v19, v14, v13, vcc_lo
	s_wait_alu 0xfffe
	v_add_co_u32 v13, vcc_lo, v15, s4
	v_or_b32_e32 v21, 0x1000, v5
	s_wait_alu 0xfffd
	v_add_co_ci_u32_e32 v14, vcc_lo, s5, v16, vcc_lo
	v_lshrrev_b32_e32 v16, 2, v19
	s_delay_alu instid0(VALU_DEP_3) | instskip(NEXT) | instid1(VALU_DEP_1)
	v_lshrrev_b32_e32 v22, v18, v21
	v_lshlrev_b32_e32 v15, v18, v22
	v_add_nc_u32_e32 v18, 0xfffffc10, v20
	v_and_or_b32 v1, 0x8000, v9, v1
	v_cvt_f64_f32_e32 v[9:10], v10
	s_delay_alu instid0(VALU_DEP_4) | instskip(NEXT) | instid1(VALU_DEP_4)
	v_cmp_ne_u32_e64 s1, v15, v21
	v_lshl_or_b32 v21, v18, 12, v5
	s_delay_alu instid0(VALU_DEP_4) | instskip(SKIP_1) | instid1(VALU_DEP_3)
	v_and_b32_e32 v1, 0xffff, v1
	s_wait_alu 0xf1ff
	v_cndmask_b32_e64 v15, 0, 1, s1
	s_delay_alu instid0(VALU_DEP_2) | instskip(SKIP_2) | instid1(VALU_DEP_4)
	v_lshl_or_b32 v11, v11, 16, v1
	v_and_b32_e32 v1, 7, v19
	v_and_or_b32 v7, 0x1ff, v8, v7
	v_or_b32_e32 v20, v22, v15
	global_store_b32 v[13:14], v11, off
	v_cmp_lt_i32_e32 vcc_lo, 5, v1
	v_cmp_eq_u32_e64 s0, 3, v1
	v_mul_f16_e32 v1, v60, v23
	s_delay_alu instid0(VALU_DEP_2) | instskip(NEXT) | instid1(VALU_DEP_1)
	s_or_b32 vcc_lo, s0, vcc_lo
	v_fmac_f16_e32 v1, v57, v2
	s_wait_alu 0xfffe
	v_add_co_ci_u32_e32 v19, vcc_lo, 0, v16, vcc_lo
	v_cmp_ne_u32_e32 vcc_lo, 0, v3
	v_mul_f16_e32 v2, v60, v2
	v_cvt_f32_f16_e32 v1, v1
	s_wait_alu 0xfffd
	v_cndmask_b32_e64 v3, 0, 1, vcc_lo
	v_cmp_gt_i32_e32 vcc_lo, 1, v18
	s_delay_alu instid0(VALU_DEP_3) | instskip(SKIP_1) | instid1(VALU_DEP_4)
	v_cvt_f64_f32_e32 v[15:16], v1
	v_fma_f16 v2, v57, v23, -v2
	v_lshl_or_b32 v3, v3, 9, 0x7c00
	s_wait_alu 0xfffd
	v_cndmask_b32_e32 v1, v21, v20, vcc_lo
	v_cmp_ne_u32_e32 vcc_lo, 0, v7
	v_mul_f64_e32 v[9:10], s[8:9], v[9:10]
	v_lshrrev_b32_e32 v20, 8, v8
	v_bfe_u32 v21, v8, 20, 11
	v_and_b32_e32 v22, 7, v1
	s_wait_alu 0xfffd
	v_cndmask_b32_e64 v7, 0, 1, vcc_lo
	v_cmp_gt_i32_e32 vcc_lo, 31, v17
	v_lshrrev_b32_e32 v1, 2, v1
	v_lshrrev_b32_e32 v8, 16, v8
	v_cmp_eq_u32_e64 s0, 3, v22
	v_and_or_b32 v7, 0xffe, v20, v7
	s_wait_alu 0xfffd
	v_cndmask_b32_e32 v19, 0x7c00, v19, vcc_lo
	v_sub_nc_u32_e32 v20, 0x3f1, v21
	v_cmp_eq_u32_e32 vcc_lo, 0x40f, v17
	v_add_nc_u32_e32 v21, 0xfffffc10, v21
	s_wait_alu 0xfffd
	v_cndmask_b32_e32 v17, v19, v3, vcc_lo
	v_or_b32_e32 v3, 0x1000, v7
	v_med3_i32 v19, v20, 0, 13
	v_cmp_lt_i32_e32 vcc_lo, 5, v22
	v_lshrrev_b32_e32 v20, 16, v4
	s_delay_alu instid0(VALU_DEP_3) | instskip(SKIP_1) | instid1(VALU_DEP_2)
	v_lshrrev_b32_e32 v22, v19, v3
	s_or_b32 vcc_lo, s0, vcc_lo
	v_and_or_b32 v11, 0x8000, v20, v17
	s_delay_alu instid0(VALU_DEP_1)
	v_and_b32_e32 v11, 0xffff, v11
	v_and_or_b32 v4, 0x1ff, v10, v9
	s_wait_alu 0xfffe
	v_add_co_ci_u32_e32 v9, vcc_lo, 0, v1, vcc_lo
	v_lshlrev_b32_e32 v1, v19, v22
	v_lshrrev_b32_e32 v19, 8, v10
	v_cmp_ne_u32_e32 vcc_lo, 0, v4
	v_bfe_u32 v23, v10, 20, 11
	s_wait_alu 0xfffd
	v_cndmask_b32_e64 v4, 0, 1, vcc_lo
	v_cmp_ne_u32_e32 vcc_lo, v1, v3
	s_delay_alu instid0(VALU_DEP_3)
	v_sub_nc_u32_e32 v25, 0x3f1, v23
	v_cvt_f32_f16_e32 v3, v2
	v_mul_f64_e32 v[1:2], s[8:9], v[15:16]
	v_and_or_b32 v19, 0xffe, v19, v4
	s_wait_alu 0xfffd
	v_cndmask_b32_e64 v24, 0, 1, vcc_lo
	v_cmp_ne_u32_e32 vcc_lo, 0, v5
	v_lshl_or_b32 v16, v21, 12, v7
	v_cvt_f64_f32_e32 v[3:4], v3
	s_delay_alu instid0(VALU_DEP_4)
	v_or_b32_e32 v15, v22, v24
	s_wait_alu 0xfffd
	v_cndmask_b32_e64 v5, 0, 1, vcc_lo
	v_cmp_gt_i32_e32 vcc_lo, 31, v18
	v_or_b32_e32 v22, 0x1000, v19
	v_med3_i32 v24, v25, 0, 13
	s_delay_alu instid0(VALU_DEP_4)
	v_lshl_or_b32 v5, v5, 9, 0x7c00
	s_wait_alu 0xfffd
	v_cndmask_b32_e32 v9, 0x7c00, v9, vcc_lo
	v_cmp_gt_i32_e32 vcc_lo, 1, v21
	s_wait_alu 0xfffd
	v_cndmask_b32_e32 v15, v16, v15, vcc_lo
	v_lshrrev_b32_e32 v16, v24, v22
	v_cmp_eq_u32_e32 vcc_lo, 0x40f, v18
	s_wait_alu 0xfffd
	s_delay_alu instid0(VALU_DEP_2) | instskip(SKIP_1) | instid1(VALU_DEP_2)
	v_dual_cndmask_b32 v5, v9, v5 :: v_dual_lshlrev_b32 v18, v24, v16
	v_and_b32_e32 v9, 7, v15
	v_cmp_ne_u32_e64 s0, v18, v22
	s_delay_alu instid0(VALU_DEP_3) | instskip(NEXT) | instid1(VALU_DEP_3)
	v_and_or_b32 v17, 0x8000, v6, v5
	v_cmp_lt_i32_e32 vcc_lo, 5, v9
	v_lshrrev_b32_e32 v6, 2, v15
	v_add_nc_u32_e32 v18, 0xfffffc10, v23
	s_wait_alu 0xf1ff
	v_cndmask_b32_e64 v5, 0, 1, s0
	v_cmp_eq_u32_e64 s0, 3, v9
	v_and_or_b32 v1, 0x1ff, v2, v1
	v_lshrrev_b32_e32 v20, 8, v2
	v_lshl_or_b32 v9, v18, 12, v19
	v_or_b32_e32 v5, v16, v5
	s_or_b32 vcc_lo, s0, vcc_lo
	v_mul_f64_e32 v[3:4], s[8:9], v[3:4]
	s_wait_alu 0xfffe
	v_add_co_ci_u32_e32 v6, vcc_lo, 0, v6, vcc_lo
	v_cmp_ne_u32_e32 vcc_lo, 0, v7
	v_bfe_u32 v22, v2, 20, 11
	v_lshl_or_b32 v17, v17, 16, v11
	v_lshrrev_b32_e32 v2, 16, v2
	s_wait_alu 0xfffd
	v_cndmask_b32_e64 v7, 0, 1, vcc_lo
	v_cmp_gt_i32_e32 vcc_lo, 1, v18
	s_delay_alu instid0(VALU_DEP_2) | instskip(SKIP_4) | instid1(VALU_DEP_3)
	v_lshl_or_b32 v7, v7, 9, 0x7c00
	s_wait_alu 0xfffd
	v_cndmask_b32_e32 v5, v9, v5, vcc_lo
	v_lshrrev_b32_e32 v9, 16, v12
	v_cmp_gt_i32_e32 vcc_lo, 31, v21
	v_and_b32_e32 v16, 7, v5
	s_delay_alu instid0(VALU_DEP_3)
	v_mul_f16_e32 v15, v58, v9
	s_wait_alu 0xfffd
	v_cndmask_b32_e32 v6, 0x7c00, v6, vcc_lo
	v_cmp_ne_u32_e32 vcc_lo, 0, v1
	v_cmp_eq_u32_e64 s0, 3, v16
	v_fmac_f16_e32 v15, v55, v12
	s_wait_alu 0xfffd
	v_cndmask_b32_e64 v1, 0, 1, vcc_lo
	v_cmp_eq_u32_e32 vcc_lo, 0x40f, v21
	s_delay_alu instid0(VALU_DEP_2)
	v_and_or_b32 v1, 0xffe, v20, v1
	s_wait_alu 0xfffd
	v_cndmask_b32_e32 v7, v6, v7, vcc_lo
	v_cvt_f32_f16_e32 v6, v15
	v_cmp_lt_i32_e32 vcc_lo, 5, v16
	v_lshrrev_b32_e32 v16, 2, v5
	v_sub_nc_u32_e32 v15, 0x3f1, v22
	v_or_b32_e32 v20, 0x1000, v1
	v_cvt_f64_f32_e32 v[5:6], v6
	s_or_b32 vcc_lo, s0, vcc_lo
	v_and_or_b32 v23, 0x8000, v8, v7
	s_wait_alu 0xfffe
	v_add_co_ci_u32_e32 v16, vcc_lo, 0, v16, vcc_lo
	v_med3_i32 v15, v15, 0, 13
	v_cmp_ne_u32_e32 vcc_lo, 0, v19
	v_mul_f16_e32 v7, v58, v12
	v_and_or_b32 v3, 0x1ff, v4, v3
	s_delay_alu instid0(VALU_DEP_4)
	v_lshrrev_b32_e32 v21, v15, v20
	s_wait_alu 0xfffd
	v_cndmask_b32_e64 v19, 0, 1, vcc_lo
	v_cmp_gt_i32_e32 vcc_lo, 31, v18
	v_fma_f16 v7, v55, v9, -v7
	v_lshlrev_b32_e32 v8, v15, v21
	s_delay_alu instid0(VALU_DEP_4)
	v_lshl_or_b32 v19, v19, 9, 0x7c00
	s_wait_alu 0xfffd
	v_cndmask_b32_e32 v16, 0x7c00, v16, vcc_lo
	v_cmp_eq_u32_e32 vcc_lo, 0x40f, v18
	v_cvt_f32_f16_e32 v7, v7
	v_lshrrev_b32_e32 v15, 16, v10
	v_add_nc_u32_e32 v18, 0xfffffc10, v22
	v_lshrrev_b32_e32 v10, 8, v4
	s_wait_alu 0xfffd
	v_cndmask_b32_e32 v12, v16, v19, vcc_lo
	v_cmp_ne_u32_e32 vcc_lo, v8, v20
	v_cvt_f64_f32_e32 v[7:8], v7
	v_bfe_u32 v16, v4, 20, 11
	v_add_nc_u32_e32 v19, 0xe00, v52
	v_and_b32_e32 v22, 0xffff, v23
	s_wait_alu 0xfffd
	v_cndmask_b32_e64 v9, 0, 1, vcc_lo
	v_cmp_ne_u32_e32 vcc_lo, 0, v3
	v_and_or_b32 v15, 0x8000, v15, v12
	s_delay_alu instid0(VALU_DEP_3)
	v_or_b32_e32 v20, v21, v9
	s_wait_alu 0xfffd
	v_cndmask_b32_e64 v3, 0, 1, vcc_lo
	v_lshl_or_b32 v21, v18, 12, v1
	v_cmp_gt_i32_e32 vcc_lo, 1, v18
	v_mul_f64_e32 v[5:6], s[8:9], v[5:6]
	v_lshl_or_b32 v22, v15, 16, v22
	v_and_or_b32 v3, 0xffe, v10, v3
	ds_load_2addr_b32 v[9:10], v19 offset0:40 offset1:157
	v_sub_nc_u32_e32 v19, 0x3f1, v16
	s_wait_alu 0xfffd
	v_cndmask_b32_e32 v20, v21, v20, vcc_lo
	v_add_co_u32 v11, vcc_lo, v13, s2
	v_or_b32_e32 v21, 0x1000, v3
	v_med3_i32 v19, v19, 0, 13
	s_delay_alu instid0(VALU_DEP_4)
	v_and_b32_e32 v23, 7, v20
	s_wait_alu 0xfffd
	v_add_co_ci_u32_e32 v12, vcc_lo, s3, v14, vcc_lo
	v_lshrrev_b32_e32 v14, 2, v20
	v_lshrrev_b32_e32 v24, v19, v21
	v_cmp_lt_i32_e32 vcc_lo, 5, v23
	v_cmp_eq_u32_e64 s0, 3, v23
	v_add_nc_u32_e32 v20, 0xfffffc10, v16
	s_delay_alu instid0(VALU_DEP_4) | instskip(NEXT) | instid1(VALU_DEP_3)
	v_lshlrev_b32_e32 v13, v19, v24
	s_or_b32 vcc_lo, s0, vcc_lo
	s_delay_alu instid0(VALU_DEP_2)
	v_lshl_or_b32 v16, v20, 12, v3
	s_wait_dscnt 0x0
	v_lshrrev_b32_e32 v19, 16, v9
	v_cmp_ne_u32_e64 s1, v13, v21
	s_wait_alu 0xfffe
	v_add_co_ci_u32_e32 v14, vcc_lo, 0, v14, vcc_lo
	v_cmp_ne_u32_e32 vcc_lo, 0, v1
	v_mul_f16_e32 v15, v56, v19
	s_wait_alu 0xf1ff
	v_cndmask_b32_e64 v13, 0, 1, s1
	v_mul_f64_e32 v[7:8], s[8:9], v[7:8]
	s_wait_alu 0xfffd
	v_cndmask_b32_e64 v1, 0, 1, vcc_lo
	v_fmac_f16_e32 v15, v54, v9
	v_or_b32_e32 v13, v24, v13
	v_cmp_gt_i32_e32 vcc_lo, 1, v20
	s_delay_alu instid0(VALU_DEP_4)
	v_lshl_or_b32 v1, v1, 9, 0x7c00
	v_and_or_b32 v5, 0x1ff, v6, v5
	s_wait_alu 0xfffd
	v_cndmask_b32_e32 v21, v16, v13, vcc_lo
	v_cvt_f32_f16_e32 v13, v15
	v_cmp_gt_i32_e32 vcc_lo, 31, v18
	v_cmp_ne_u32_e64 s0, 0, v5
	s_delay_alu instid0(VALU_DEP_4)
	v_and_b32_e32 v24, 7, v21
	v_lshrrev_b32_e32 v21, 2, v21
	s_wait_alu 0xfffd
	v_cndmask_b32_e32 v23, 0x7c00, v14, vcc_lo
	v_cvt_f64_f32_e32 v[13:14], v13
	v_add_co_u32 v15, vcc_lo, v11, s4
	s_wait_alu 0xfffd
	v_add_co_ci_u32_e32 v16, vcc_lo, s5, v12, vcc_lo
	v_cmp_eq_u32_e32 vcc_lo, 0x40f, v18
	s_wait_alu 0xf1ff
	v_cndmask_b32_e64 v5, 0, 1, s0
	v_cmp_eq_u32_e64 s0, 3, v24
	v_lshrrev_b32_e32 v18, 8, v6
	s_clause 0x1
	global_store_b32 v[11:12], v17, off
	global_store_b32 v[15:16], v22, off
	s_wait_alu 0xfffd
	v_cndmask_b32_e32 v1, v23, v1, vcc_lo
	v_cmp_lt_i32_e32 vcc_lo, 5, v24
	v_bfe_u32 v23, v6, 20, 11
	v_and_or_b32 v5, 0xffe, v18, v5
	v_lshrrev_b32_e32 v6, 16, v6
	v_and_or_b32 v25, 0x8000, v2, v1
	s_or_b32 vcc_lo, s0, vcc_lo
	v_sub_nc_u32_e32 v18, 0x3f1, v23
	s_wait_alu 0xfffe
	v_add_co_ci_u32_e32 v21, vcc_lo, 0, v21, vcc_lo
	v_cmp_ne_u32_e32 vcc_lo, 0, v3
	v_or_b32_e32 v24, 0x1000, v5
	v_med3_i32 v18, v18, 0, 13
	v_and_or_b32 v1, 0x1ff, v8, v7
	s_wait_alu 0xfffd
	v_cndmask_b32_e64 v3, 0, 1, vcc_lo
	v_cmp_gt_i32_e32 vcc_lo, 31, v20
	v_lshrrev_b32_e32 v26, v18, v24
	s_delay_alu instid0(VALU_DEP_3)
	v_lshl_or_b32 v3, v3, 9, 0x7c00
	s_wait_alu 0xfffd
	v_cndmask_b32_e32 v21, 0x7c00, v21, vcc_lo
	v_cmp_eq_u32_e32 vcc_lo, 0x40f, v20
	v_lshrrev_b32_e32 v20, 16, v4
	v_mul_f16_e32 v4, v56, v9
	s_wait_alu 0xfffd
	v_cndmask_b32_e32 v7, v21, v3, vcc_lo
	v_lshlrev_b32_e32 v3, v18, v26
	v_cmp_ne_u32_e32 vcc_lo, 0, v1
	v_lshrrev_b32_e32 v18, 8, v8
	v_bfe_u32 v21, v8, 20, 11
	v_mul_f64_e32 v[1:2], s[8:9], v[13:14]
	v_fma_f16 v4, v54, v19, -v4
	s_wait_alu 0xfffd
	v_cndmask_b32_e64 v9, 0, 1, vcc_lo
	v_cmp_ne_u32_e32 vcc_lo, v3, v24
	v_add_nc_u32_e32 v19, 0xfffffc10, v23
	v_sub_nc_u32_e32 v13, 0x3f1, v21
	v_cvt_f32_f16_e32 v4, v4
	v_and_or_b32 v9, 0xffe, v18, v9
	s_wait_alu 0xfffd
	v_cndmask_b32_e64 v3, 0, 1, vcc_lo
	v_lshl_or_b32 v18, v19, 12, v5
	v_med3_i32 v13, v13, 0, 13
	v_cmp_gt_i32_e32 vcc_lo, 1, v19
	v_or_b32_e32 v23, 0x1000, v9
	v_or_b32_e32 v14, v26, v3
	v_cvt_f64_f32_e32 v[3:4], v4
	v_and_or_b32 v7, 0x8000, v20, v7
	v_and_b32_e32 v20, 0xffff, v25
	v_cmp_eq_u32_e64 s1, 0x40f, v19
	s_wait_alu 0xfffd
	v_cndmask_b32_e32 v14, v18, v14, vcc_lo
	v_lshrrev_b32_e32 v18, v13, v23
	v_add_co_u32 v11, vcc_lo, v15, s2
	v_lshl_or_b32 v17, v7, 16, v20
	s_delay_alu instid0(VALU_DEP_4) | instskip(NEXT) | instid1(VALU_DEP_4)
	v_and_b32_e32 v7, 7, v14
	v_lshlrev_b32_e32 v13, v13, v18
	v_lshrrev_b32_e32 v15, 16, v0
	s_wait_alu 0xfffd
	v_add_co_ci_u32_e32 v12, vcc_lo, s3, v16, vcc_lo
	v_cmp_lt_i32_e32 vcc_lo, 5, v7
	v_cmp_ne_u32_e64 s0, v13, v23
	v_add_nc_u32_e32 v16, 0xfffffc10, v21
	v_mul_f16_e32 v20, v53, v15
	v_lshrrev_b32_e32 v8, 16, v8
	s_wait_alu 0xf1ff
	v_cndmask_b32_e64 v13, 0, 1, s0
	v_cmp_eq_u32_e64 s0, 3, v7
	v_lshrrev_b32_e32 v7, 2, v14
	v_lshl_or_b32 v14, v16, 12, v9
	v_fmac_f16_e32 v20, v50, v0
	v_or_b32_e32 v13, v18, v13
	s_or_b32 vcc_lo, s0, vcc_lo
	v_and_or_b32 v1, 0x1ff, v2, v1
	s_wait_alu 0xfffe
	v_add_co_ci_u32_e32 v7, vcc_lo, 0, v7, vcc_lo
	v_cmp_gt_i32_e32 vcc_lo, 1, v16
	v_cvt_f32_f16_e32 v18, v20
	v_bfe_u32 v21, v2, 20, 11
	s_wait_alu 0xfffd
	v_cndmask_b32_e32 v20, v14, v13, vcc_lo
	v_cmp_ne_u32_e32 vcc_lo, 0, v1
	v_cvt_f64_f32_e32 v[13:14], v18
	v_lshrrev_b32_e32 v18, 8, v2
	v_mul_f64_e32 v[3:4], s[8:9], v[3:4]
	v_and_b32_e32 v22, 7, v20
	s_wait_alu 0xfffd
	v_cndmask_b32_e64 v1, 0, 1, vcc_lo
	v_cmp_ne_u32_e32 vcc_lo, 0, v5
	v_lshrrev_b32_e32 v20, 2, v20
	v_cmp_eq_u32_e64 s0, 3, v22
	s_delay_alu instid0(VALU_DEP_4)
	v_and_or_b32 v18, 0xffe, v18, v1
	s_wait_alu 0xfffd
	v_cndmask_b32_e64 v5, 0, 1, vcc_lo
	v_cmp_gt_i32_e32 vcc_lo, 31, v19
	v_sub_nc_u32_e32 v1, 0x3f1, v21
	v_add_nc_u32_e32 v21, 0xfffffc10, v21
	v_or_b32_e32 v23, 0x1000, v18
	v_lshl_or_b32 v5, v5, 9, 0x7c00
	s_wait_alu 0xfffd
	v_cndmask_b32_e32 v7, 0x7c00, v7, vcc_lo
	v_cmp_lt_i32_e32 vcc_lo, 5, v22
	v_med3_i32 v1, v1, 0, 13
	s_delay_alu instid0(VALU_DEP_3) | instskip(SKIP_1) | instid1(VALU_DEP_2)
	v_cndmask_b32_e64 v5, v7, v5, s1
	s_or_b32 vcc_lo, s0, vcc_lo
	v_lshrrev_b32_e32 v7, v1, v23
	s_wait_alu 0xfffe
	v_add_co_ci_u32_e32 v19, vcc_lo, 0, v20, vcc_lo
	v_cmp_ne_u32_e32 vcc_lo, 0, v9
	v_and_or_b32 v20, 0x8000, v6, v5
	v_lshlrev_b32_e32 v1, v1, v7
	s_wait_alu 0xfffd
	v_cndmask_b32_e64 v9, 0, 1, vcc_lo
	v_cmp_gt_i32_e32 vcc_lo, 31, v16
	s_delay_alu instid0(VALU_DEP_2)
	v_lshl_or_b32 v9, v9, 9, 0x7c00
	s_wait_alu 0xfffd
	v_cndmask_b32_e32 v19, 0x7c00, v19, vcc_lo
	v_cmp_ne_u32_e32 vcc_lo, v1, v23
	v_and_or_b32 v3, 0x1ff, v4, v3
	s_wait_alu 0xfffd
	v_cndmask_b32_e64 v1, 0, 1, vcc_lo
	v_cmp_eq_u32_e32 vcc_lo, 0x40f, v16
	v_lshrrev_b32_e32 v16, 16, v10
	s_delay_alu instid0(VALU_DEP_3)
	v_or_b32_e32 v6, v7, v1
	v_mul_f16_e32 v7, v53, v0
	v_mul_f64_e32 v[0:1], s[8:9], v[13:14]
	s_wait_alu 0xfffd
	v_cndmask_b32_e32 v5, v19, v9, vcc_lo
	v_lshl_or_b32 v9, v21, 12, v18
	v_cmp_gt_i32_e32 vcc_lo, 1, v21
	v_fma_f16 v7, v50, v15, -v7
	v_bfe_u32 v13, v4, 20, 11
	v_and_or_b32 v8, 0x8000, v8, v5
	s_wait_alu 0xfffd
	v_cndmask_b32_e32 v9, v9, v6, vcc_lo
	v_cmp_ne_u32_e32 vcc_lo, 0, v3
	v_cvt_f32_f16_e32 v6, v7
	v_lshrrev_b32_e32 v7, 8, v4
	s_delay_alu instid0(VALU_DEP_4) | instskip(SKIP_3) | instid1(VALU_DEP_3)
	v_and_b32_e32 v14, 7, v9
	s_wait_alu 0xfffd
	v_cndmask_b32_e64 v3, 0, 1, vcc_lo
	v_cvt_f64_f32_e32 v[5:6], v6
	v_cmp_lt_i32_e32 vcc_lo, 5, v14
	s_delay_alu instid0(VALU_DEP_3)
	v_and_or_b32 v15, 0xffe, v7, v3
	v_and_b32_e32 v7, 0xffff, v20
	v_sub_nc_u32_e32 v3, 0x3f1, v13
	v_cmp_eq_u32_e64 s0, 3, v14
	v_mul_f16_e32 v20, v51, v16
	v_or_b32_e32 v19, 0x1000, v15
	v_lshl_or_b32 v14, v8, 16, v7
	v_lshrrev_b32_e32 v7, 2, v9
	v_med3_i32 v3, v3, 0, 13
	s_or_b32 vcc_lo, s0, vcc_lo
	v_fmac_f16_e32 v20, v49, v10
	v_add_nc_u32_e32 v13, 0xfffffc10, v13
	s_wait_alu 0xfffe
	v_add_co_ci_u32_e32 v7, vcc_lo, 0, v7, vcc_lo
	v_lshrrev_b32_e32 v9, v3, v19
	v_cmp_ne_u32_e32 vcc_lo, 0, v18
	v_cvt_f32_f16_e32 v18, v20
	v_mul_f16_e32 v10, v51, v10
	s_delay_alu instid0(VALU_DEP_4) | instskip(SKIP_4) | instid1(VALU_DEP_3)
	v_lshlrev_b32_e32 v3, v3, v9
	s_wait_alu 0xfffd
	v_cndmask_b32_e64 v8, 0, 1, vcc_lo
	v_cmp_gt_i32_e32 vcc_lo, 31, v21
	v_and_or_b32 v0, 0x1ff, v1, v0
	v_lshl_or_b32 v22, v8, 9, 0x7c00
	s_wait_alu 0xfffd
	v_cndmask_b32_e32 v20, 0x7c00, v7, vcc_lo
	v_cvt_f64_f32_e32 v[7:8], v18
	v_cmp_ne_u32_e32 vcc_lo, v3, v19
	v_lshrrev_b32_e32 v18, 8, v1
	v_bfe_u32 v19, v1, 20, 11
	v_lshrrev_b32_e32 v1, 16, v1
	s_wait_alu 0xfffd
	v_cndmask_b32_e64 v3, 0, 1, vcc_lo
	v_cmp_ne_u32_e32 vcc_lo, 0, v0
	v_mul_f64_e32 v[5:6], s[8:9], v[5:6]
	s_delay_alu instid0(VALU_DEP_3)
	v_or_b32_e32 v3, v9, v3
	s_wait_alu 0xfffd
	v_cndmask_b32_e64 v0, 0, 1, vcc_lo
	v_fma_f16 v9, v49, v16, -v10
	v_lshl_or_b32 v10, v13, 12, v15
	v_cmp_gt_i32_e32 vcc_lo, 1, v13
	v_sub_nc_u32_e32 v16, 0x3f1, v19
	v_and_or_b32 v0, 0xffe, v18, v0
	v_cvt_f32_f16_e32 v9, v9
	v_add_nc_u32_e32 v19, 0xfffffc10, v19
	s_wait_alu 0xfffd
	v_cndmask_b32_e32 v18, v10, v3, vcc_lo
	v_cmp_eq_u32_e32 vcc_lo, 0x40f, v21
	v_or_b32_e32 v23, 0x1000, v0
	v_med3_i32 v16, v16, 0, 13
	v_cvt_f64_f32_e32 v[9:10], v9
	v_lshrrev_b32_e32 v21, 16, v2
	s_wait_alu 0xfffd
	v_cndmask_b32_e32 v20, v20, v22, vcc_lo
	v_and_b32_e32 v22, 7, v18
	v_add_co_u32 v2, vcc_lo, v11, s4
	v_lshrrev_b32_e32 v24, v16, v23
	s_wait_alu 0xfffd
	v_add_co_ci_u32_e32 v3, vcc_lo, s5, v12, vcc_lo
	v_cmp_lt_i32_e32 vcc_lo, 5, v22
	v_cmp_eq_u32_e64 s0, 3, v22
	v_lshrrev_b32_e32 v18, 2, v18
	v_lshlrev_b32_e32 v16, v16, v24
	v_and_or_b32 v20, 0x8000, v21, v20
	v_mul_f64_e32 v[7:8], s[8:9], v[7:8]
	s_or_b32 vcc_lo, s0, vcc_lo
	v_lshl_or_b32 v21, v19, 12, v0
	s_wait_alu 0xfffe
	v_add_co_ci_u32_e32 v18, vcc_lo, 0, v18, vcc_lo
	v_cmp_ne_u32_e64 s1, v16, v23
	v_cmp_ne_u32_e32 vcc_lo, 0, v15
	v_and_or_b32 v5, 0x1ff, v6, v5
	v_lshrrev_b32_e32 v22, 8, v6
	s_wait_alu 0xf1ff
	v_cndmask_b32_e64 v16, 0, 1, s1
	s_wait_alu 0xfffd
	v_cndmask_b32_e64 v15, 0, 1, vcc_lo
	v_cmp_gt_i32_e32 vcc_lo, 31, v13
	s_delay_alu instid0(VALU_DEP_3) | instskip(NEXT) | instid1(VALU_DEP_3)
	v_or_b32_e32 v16, v24, v16
	v_lshl_or_b32 v15, v15, 9, 0x7c00
	s_wait_alu 0xfffd
	v_cndmask_b32_e32 v18, 0x7c00, v18, vcc_lo
	v_cmp_gt_i32_e32 vcc_lo, 1, v19
	s_wait_alu 0xfffd
	v_cndmask_b32_e32 v16, v21, v16, vcc_lo
	v_cmp_eq_u32_e32 vcc_lo, 0x40f, v13
	s_wait_alu 0xfffd
	v_cndmask_b32_e32 v13, v18, v15, vcc_lo
	v_lshrrev_b32_e32 v15, 16, v4
	v_cmp_ne_u32_e32 vcc_lo, 0, v5
	v_and_b32_e32 v18, 7, v16
	v_mul_f64_e32 v[4:5], s[8:9], v[9:10]
	v_bfe_u32 v9, v6, 20, 11
	v_and_or_b32 v10, 0x8000, v15, v13
	v_and_b32_e32 v13, 0xffff, v20
	s_wait_alu 0xfffd
	v_cndmask_b32_e64 v21, 0, 1, vcc_lo
	v_cmp_lt_i32_e32 vcc_lo, 5, v18
	v_cmp_eq_u32_e64 s0, 3, v18
	v_sub_nc_u32_e32 v20, 0x3f1, v9
	v_lshl_or_b32 v10, v10, 16, v13
	v_lshrrev_b32_e32 v13, 2, v16
	v_and_or_b32 v15, 0xffe, v22, v21
	s_or_b32 vcc_lo, s0, vcc_lo
	v_med3_i32 v18, v20, 0, 13
	v_and_or_b32 v7, 0x1ff, v8, v7
	s_wait_alu 0xfffe
	v_add_co_ci_u32_e32 v13, vcc_lo, 0, v13, vcc_lo
	v_or_b32_e32 v16, 0x1000, v15
	v_cmp_ne_u32_e32 vcc_lo, 0, v0
	v_lshrrev_b32_e32 v21, 8, v8
	v_bfe_u32 v22, v8, 20, 11
	v_add_nc_u32_e32 v9, 0xfffffc10, v9
	v_lshrrev_b32_e32 v20, v18, v16
	s_wait_alu 0xfffd
	v_cndmask_b32_e64 v0, 0, 1, vcc_lo
	v_cmp_gt_i32_e32 vcc_lo, 31, v19
	v_lshrrev_b32_e32 v6, 16, v6
	v_lshrrev_b32_e32 v8, 16, v8
	v_lshlrev_b32_e32 v18, v18, v20
	v_lshl_or_b32 v0, v0, 9, 0x7c00
	s_wait_alu 0xfffd
	v_cndmask_b32_e32 v13, 0x7c00, v13, vcc_lo
	v_cmp_ne_u32_e32 vcc_lo, 0, v7
	s_wait_alu 0xfffd
	v_cndmask_b32_e64 v7, 0, 1, vcc_lo
	v_cmp_ne_u32_e32 vcc_lo, v18, v16
	v_sub_nc_u32_e32 v18, 0x3f1, v22
	v_and_or_b32 v4, 0x1ff, v5, v4
	s_delay_alu instid0(VALU_DEP_4)
	v_and_or_b32 v7, 0xffe, v21, v7
	s_wait_alu 0xfffd
	v_cndmask_b32_e64 v16, 0, 1, vcc_lo
	v_cmp_eq_u32_e32 vcc_lo, 0x40f, v19
	v_med3_i32 v18, v18, 0, 13
	v_bfe_u32 v21, v5, 20, 11
	v_or_b32_e32 v19, 0x1000, v7
	s_wait_alu 0xfffd
	v_cndmask_b32_e32 v0, v13, v0, vcc_lo
	v_or_b32_e32 v13, v20, v16
	v_lshl_or_b32 v16, v9, 12, v15
	v_cmp_gt_i32_e32 vcc_lo, 1, v9
	v_lshrrev_b32_e32 v20, 8, v5
	v_and_or_b32 v0, 0x8000, v1, v0
	v_lshrrev_b32_e32 v5, 16, v5
	s_wait_alu 0xfffd
	v_cndmask_b32_e32 v13, v16, v13, vcc_lo
	v_lshrrev_b32_e32 v16, v18, v19
	v_cmp_ne_u32_e32 vcc_lo, 0, v4
	s_delay_alu instid0(VALU_DEP_3) | instskip(NEXT) | instid1(VALU_DEP_3)
	v_and_b32_e32 v23, 7, v13
	v_lshlrev_b32_e32 v18, v18, v16
	s_wait_alu 0xfffd
	v_cndmask_b32_e64 v4, 0, 1, vcc_lo
	v_lshrrev_b32_e32 v13, 2, v13
	v_cmp_lt_i32_e32 vcc_lo, 5, v23
	v_cmp_ne_u32_e64 s0, v18, v19
	s_delay_alu instid0(VALU_DEP_4)
	v_and_or_b32 v1, 0xffe, v20, v4
	v_add_nc_u32_e32 v20, 0xfffffc10, v22
	v_sub_nc_u32_e32 v4, 0x3f1, v21
	s_wait_alu 0xf1ff
	v_cndmask_b32_e64 v18, 0, 1, s0
	v_cmp_eq_u32_e64 s0, 3, v23
	v_or_b32_e32 v19, 0x1000, v1
	v_med3_i32 v4, v4, 0, 13
	v_lshl_or_b32 v22, v20, 12, v7
	v_or_b32_e32 v16, v16, v18
	s_or_b32 vcc_lo, s0, vcc_lo
	s_wait_alu 0xfffe
	v_add_co_ci_u32_e32 v13, vcc_lo, 0, v13, vcc_lo
	v_lshrrev_b32_e32 v18, v4, v19
	v_cmp_gt_i32_e32 vcc_lo, 1, v20
	s_delay_alu instid0(VALU_DEP_2)
	v_lshlrev_b32_e32 v4, v4, v18
	s_wait_alu 0xfffd
	v_cndmask_b32_e32 v16, v22, v16, vcc_lo
	v_cmp_ne_u32_e32 vcc_lo, 0, v15
	s_wait_alu 0xfffd
	v_cndmask_b32_e64 v15, 0, 1, vcc_lo
	v_cmp_ne_u32_e32 vcc_lo, v4, v19
	v_add_nc_u32_e32 v19, 0xfffffc10, v21
	v_and_b32_e32 v21, 7, v16
	s_delay_alu instid0(VALU_DEP_4)
	v_lshl_or_b32 v15, v15, 9, 0x7c00
	s_wait_alu 0xfffd
	v_cndmask_b32_e64 v4, 0, 1, vcc_lo
	v_cmp_gt_i32_e32 vcc_lo, 31, v9
	v_cmp_gt_i32_e64 s1, 1, v19
	v_cmp_eq_u32_e64 s0, 3, v21
	s_delay_alu instid0(VALU_DEP_4)
	v_or_b32_e32 v4, v18, v4
	v_lshl_or_b32 v18, v19, 12, v1
	s_wait_alu 0xfffd
	v_cndmask_b32_e32 v13, 0x7c00, v13, vcc_lo
	v_cmp_lt_i32_e32 vcc_lo, 5, v21
	s_wait_alu 0xf1ff
	v_cndmask_b32_e64 v4, v18, v4, s1
	v_cmp_eq_u32_e64 s1, 0x40f, v9
	s_or_b32 vcc_lo, s0, vcc_lo
	s_delay_alu instid0(VALU_DEP_1)
	v_cndmask_b32_e64 v9, v13, v15, s1
	v_lshrrev_b32_e32 v13, 2, v16
	v_and_b32_e32 v15, 7, v4
	v_lshrrev_b32_e32 v4, 2, v4
	v_cmp_gt_i32_e64 s1, 31, v20
	v_and_or_b32 v6, 0x8000, v6, v9
	s_wait_alu 0xfffe
	v_add_co_ci_u32_e32 v13, vcc_lo, 0, v13, vcc_lo
	v_cmp_ne_u32_e32 vcc_lo, 0, v7
	v_cmp_eq_u32_e64 s0, 3, v15
	v_and_b32_e32 v9, 0xffff, v0
	s_wait_alu 0xf1ff
	v_cndmask_b32_e64 v13, 0x7c00, v13, s1
	s_wait_alu 0xfffd
	v_cndmask_b32_e64 v7, 0, 1, vcc_lo
	v_cmp_lt_i32_e32 vcc_lo, 5, v15
	s_delay_alu instid0(VALU_DEP_2)
	v_lshl_or_b32 v7, v7, 9, 0x7c00
	s_or_b32 vcc_lo, s0, vcc_lo
	s_wait_alu 0xfffe
	v_add_co_ci_u32_e32 v4, vcc_lo, 0, v4, vcc_lo
	v_cmp_ne_u32_e32 vcc_lo, 0, v1
	s_wait_alu 0xfffd
	v_cndmask_b32_e64 v1, 0, 1, vcc_lo
	v_cmp_eq_u32_e32 vcc_lo, 0x40f, v20
	s_delay_alu instid0(VALU_DEP_2) | instskip(SKIP_3) | instid1(VALU_DEP_2)
	v_lshl_or_b32 v1, v1, 9, 0x7c00
	s_wait_alu 0xfffd
	v_cndmask_b32_e32 v7, v13, v7, vcc_lo
	v_cmp_gt_i32_e32 vcc_lo, 31, v19
	v_and_or_b32 v7, 0x8000, v8, v7
	s_wait_alu 0xfffd
	v_cndmask_b32_e32 v4, 0x7c00, v4, vcc_lo
	v_cmp_eq_u32_e32 vcc_lo, 0x40f, v19
	v_lshl_or_b32 v8, v6, 16, v9
	s_wait_alu 0xfffd
	s_delay_alu instid0(VALU_DEP_3) | instskip(SKIP_3) | instid1(VALU_DEP_3)
	v_dual_cndmask_b32 v4, v4, v1 :: v_dual_and_b32 v7, 0xffff, v7
	v_add_co_u32 v0, vcc_lo, v2, s2
	s_wait_alu 0xfffd
	v_add_co_ci_u32_e32 v1, vcc_lo, s3, v3, vcc_lo
	v_and_or_b32 v6, 0x8000, v5, v4
	s_delay_alu instid0(VALU_DEP_3) | instskip(SKIP_1) | instid1(VALU_DEP_3)
	v_add_co_u32 v4, vcc_lo, v0, s4
	s_wait_alu 0xfffd
	v_add_co_ci_u32_e32 v5, vcc_lo, s5, v1, vcc_lo
	s_delay_alu instid0(VALU_DEP_3) | instskip(NEXT) | instid1(VALU_DEP_3)
	v_lshl_or_b32 v9, v6, 16, v7
	v_add_co_u32 v6, vcc_lo, v4, s2
	s_wait_alu 0xfffd
	s_delay_alu instid0(VALU_DEP_3)
	v_add_co_ci_u32_e32 v7, vcc_lo, s3, v5, vcc_lo
	global_store_b32 v[11:12], v17, off
	global_store_b32 v[2:3], v14, off
	;; [unrolled: 1-line block ×5, first 2 shown]
.LBB0_26:
	s_nop 0
	s_sendmsg sendmsg(MSG_DEALLOC_VGPRS)
	s_endpgm
	.section	.rodata,"a",@progbits
	.p2align	6, 0x0
	.amdhsa_kernel bluestein_single_back_len1170_dim1_half_op_CI_CI
		.amdhsa_group_segment_fixed_size 4680
		.amdhsa_private_segment_fixed_size 0
		.amdhsa_kernarg_size 104
		.amdhsa_user_sgpr_count 2
		.amdhsa_user_sgpr_dispatch_ptr 0
		.amdhsa_user_sgpr_queue_ptr 0
		.amdhsa_user_sgpr_kernarg_segment_ptr 1
		.amdhsa_user_sgpr_dispatch_id 0
		.amdhsa_user_sgpr_private_segment_size 0
		.amdhsa_wavefront_size32 1
		.amdhsa_uses_dynamic_stack 0
		.amdhsa_enable_private_segment 0
		.amdhsa_system_sgpr_workgroup_id_x 1
		.amdhsa_system_sgpr_workgroup_id_y 0
		.amdhsa_system_sgpr_workgroup_id_z 0
		.amdhsa_system_sgpr_workgroup_info 0
		.amdhsa_system_vgpr_workitem_id 0
		.amdhsa_next_free_vgpr 235
		.amdhsa_next_free_sgpr 20
		.amdhsa_reserve_vcc 1
		.amdhsa_float_round_mode_32 0
		.amdhsa_float_round_mode_16_64 0
		.amdhsa_float_denorm_mode_32 3
		.amdhsa_float_denorm_mode_16_64 3
		.amdhsa_fp16_overflow 0
		.amdhsa_workgroup_processor_mode 1
		.amdhsa_memory_ordered 1
		.amdhsa_forward_progress 0
		.amdhsa_round_robin_scheduling 0
		.amdhsa_exception_fp_ieee_invalid_op 0
		.amdhsa_exception_fp_denorm_src 0
		.amdhsa_exception_fp_ieee_div_zero 0
		.amdhsa_exception_fp_ieee_overflow 0
		.amdhsa_exception_fp_ieee_underflow 0
		.amdhsa_exception_fp_ieee_inexact 0
		.amdhsa_exception_int_div_zero 0
	.end_amdhsa_kernel
	.text
.Lfunc_end0:
	.size	bluestein_single_back_len1170_dim1_half_op_CI_CI, .Lfunc_end0-bluestein_single_back_len1170_dim1_half_op_CI_CI
                                        ; -- End function
	.section	.AMDGPU.csdata,"",@progbits
; Kernel info:
; codeLenInByte = 25896
; NumSgprs: 22
; NumVgprs: 235
; ScratchSize: 0
; MemoryBound: 0
; FloatMode: 240
; IeeeMode: 1
; LDSByteSize: 4680 bytes/workgroup (compile time only)
; SGPRBlocks: 2
; VGPRBlocks: 29
; NumSGPRsForWavesPerEU: 22
; NumVGPRsForWavesPerEU: 235
; Occupancy: 6
; WaveLimiterHint : 1
; COMPUTE_PGM_RSRC2:SCRATCH_EN: 0
; COMPUTE_PGM_RSRC2:USER_SGPR: 2
; COMPUTE_PGM_RSRC2:TRAP_HANDLER: 0
; COMPUTE_PGM_RSRC2:TGID_X_EN: 1
; COMPUTE_PGM_RSRC2:TGID_Y_EN: 0
; COMPUTE_PGM_RSRC2:TGID_Z_EN: 0
; COMPUTE_PGM_RSRC2:TIDIG_COMP_CNT: 0
	.text
	.p2alignl 7, 3214868480
	.fill 96, 4, 3214868480
	.type	__hip_cuid_cfe94d5ca9ee2911,@object ; @__hip_cuid_cfe94d5ca9ee2911
	.section	.bss,"aw",@nobits
	.globl	__hip_cuid_cfe94d5ca9ee2911
__hip_cuid_cfe94d5ca9ee2911:
	.byte	0                               ; 0x0
	.size	__hip_cuid_cfe94d5ca9ee2911, 1

	.ident	"AMD clang version 19.0.0git (https://github.com/RadeonOpenCompute/llvm-project roc-6.4.0 25133 c7fe45cf4b819c5991fe208aaa96edf142730f1d)"
	.section	".note.GNU-stack","",@progbits
	.addrsig
	.addrsig_sym __hip_cuid_cfe94d5ca9ee2911
	.amdgpu_metadata
---
amdhsa.kernels:
  - .args:
      - .actual_access:  read_only
        .address_space:  global
        .offset:         0
        .size:           8
        .value_kind:     global_buffer
      - .actual_access:  read_only
        .address_space:  global
        .offset:         8
        .size:           8
        .value_kind:     global_buffer
      - .actual_access:  read_only
        .address_space:  global
        .offset:         16
        .size:           8
        .value_kind:     global_buffer
      - .actual_access:  read_only
        .address_space:  global
        .offset:         24
        .size:           8
        .value_kind:     global_buffer
      - .actual_access:  read_only
        .address_space:  global
        .offset:         32
        .size:           8
        .value_kind:     global_buffer
      - .offset:         40
        .size:           8
        .value_kind:     by_value
      - .address_space:  global
        .offset:         48
        .size:           8
        .value_kind:     global_buffer
      - .address_space:  global
        .offset:         56
        .size:           8
        .value_kind:     global_buffer
      - .address_space:  global
        .offset:         64
        .size:           8
        .value_kind:     global_buffer
      - .address_space:  global
        .offset:         72
        .size:           8
        .value_kind:     global_buffer
      - .offset:         80
        .size:           4
        .value_kind:     by_value
      - .address_space:  global
        .offset:         88
        .size:           8
        .value_kind:     global_buffer
      - .address_space:  global
        .offset:         96
        .size:           8
        .value_kind:     global_buffer
    .group_segment_fixed_size: 4680
    .kernarg_segment_align: 8
    .kernarg_segment_size: 104
    .language:       OpenCL C
    .language_version:
      - 2
      - 0
    .max_flat_workgroup_size: 117
    .name:           bluestein_single_back_len1170_dim1_half_op_CI_CI
    .private_segment_fixed_size: 0
    .sgpr_count:     22
    .sgpr_spill_count: 0
    .symbol:         bluestein_single_back_len1170_dim1_half_op_CI_CI.kd
    .uniform_work_group_size: 1
    .uses_dynamic_stack: false
    .vgpr_count:     235
    .vgpr_spill_count: 0
    .wavefront_size: 32
    .workgroup_processor_mode: 1
amdhsa.target:   amdgcn-amd-amdhsa--gfx1201
amdhsa.version:
  - 1
  - 2
...

	.end_amdgpu_metadata
